;; amdgpu-corpus repo=ROCm/rocFFT kind=compiled arch=gfx906 opt=O3
	.text
	.amdgcn_target "amdgcn-amd-amdhsa--gfx906"
	.amdhsa_code_object_version 6
	.protected	fft_rtc_back_len480_factors_10_8_6_wgs_64_tpt_16_halfLds_half_ip_CI_unitstride_sbrr_C2R_dirReg ; -- Begin function fft_rtc_back_len480_factors_10_8_6_wgs_64_tpt_16_halfLds_half_ip_CI_unitstride_sbrr_C2R_dirReg
	.globl	fft_rtc_back_len480_factors_10_8_6_wgs_64_tpt_16_halfLds_half_ip_CI_unitstride_sbrr_C2R_dirReg
	.p2align	8
	.type	fft_rtc_back_len480_factors_10_8_6_wgs_64_tpt_16_halfLds_half_ip_CI_unitstride_sbrr_C2R_dirReg,@function
fft_rtc_back_len480_factors_10_8_6_wgs_64_tpt_16_halfLds_half_ip_CI_unitstride_sbrr_C2R_dirReg: ; @fft_rtc_back_len480_factors_10_8_6_wgs_64_tpt_16_halfLds_half_ip_CI_unitstride_sbrr_C2R_dirReg
; %bb.0:
	s_load_dwordx2 s[12:13], s[4:5], 0x50
	s_load_dwordx4 s[8:11], s[4:5], 0x0
	s_load_dwordx2 s[2:3], s[4:5], 0x18
	v_lshrrev_b32_e32 v9, 4, v0
	v_mov_b32_e32 v3, 0
	v_mov_b32_e32 v1, 0
	s_waitcnt lgkmcnt(0)
	v_cmp_lt_u64_e64 s[0:1], s[10:11], 2
	v_lshl_or_b32 v5, s6, 2, v9
	v_mov_b32_e32 v6, v3
	s_and_b64 vcc, exec, s[0:1]
	v_mov_b32_e32 v2, 0
	s_cbranch_vccnz .LBB0_8
; %bb.1:
	s_load_dwordx2 s[0:1], s[4:5], 0x10
	s_add_u32 s6, s2, 8
	s_addc_u32 s7, s3, 0
	v_mov_b32_e32 v1, 0
	v_mov_b32_e32 v2, 0
	s_waitcnt lgkmcnt(0)
	s_add_u32 s14, s0, 8
	s_addc_u32 s15, s1, 0
	s_mov_b64 s[16:17], 1
.LBB0_2:                                ; =>This Inner Loop Header: Depth=1
	s_load_dwordx2 s[18:19], s[14:15], 0x0
                                        ; implicit-def: $vgpr7_vgpr8
	s_waitcnt lgkmcnt(0)
	v_or_b32_e32 v4, s19, v6
	v_cmp_ne_u64_e32 vcc, 0, v[3:4]
	s_and_saveexec_b64 s[0:1], vcc
	s_xor_b64 s[20:21], exec, s[0:1]
	s_cbranch_execz .LBB0_4
; %bb.3:                                ;   in Loop: Header=BB0_2 Depth=1
	v_cvt_f32_u32_e32 v4, s18
	v_cvt_f32_u32_e32 v7, s19
	s_sub_u32 s0, 0, s18
	s_subb_u32 s1, 0, s19
	v_mac_f32_e32 v4, 0x4f800000, v7
	v_rcp_f32_e32 v4, v4
	v_mul_f32_e32 v4, 0x5f7ffffc, v4
	v_mul_f32_e32 v7, 0x2f800000, v4
	v_trunc_f32_e32 v7, v7
	v_mac_f32_e32 v4, 0xcf800000, v7
	v_cvt_u32_f32_e32 v7, v7
	v_cvt_u32_f32_e32 v4, v4
	v_mul_lo_u32 v8, s0, v7
	v_mul_hi_u32 v10, s0, v4
	v_mul_lo_u32 v12, s1, v4
	v_mul_lo_u32 v11, s0, v4
	v_add_u32_e32 v8, v10, v8
	v_add_u32_e32 v8, v8, v12
	v_mul_hi_u32 v10, v4, v11
	v_mul_lo_u32 v12, v4, v8
	v_mul_hi_u32 v14, v4, v8
	v_mul_hi_u32 v13, v7, v11
	v_mul_lo_u32 v11, v7, v11
	v_mul_hi_u32 v15, v7, v8
	v_add_co_u32_e32 v10, vcc, v10, v12
	v_addc_co_u32_e32 v12, vcc, 0, v14, vcc
	v_mul_lo_u32 v8, v7, v8
	v_add_co_u32_e32 v10, vcc, v10, v11
	v_addc_co_u32_e32 v10, vcc, v12, v13, vcc
	v_addc_co_u32_e32 v11, vcc, 0, v15, vcc
	v_add_co_u32_e32 v8, vcc, v10, v8
	v_addc_co_u32_e32 v10, vcc, 0, v11, vcc
	v_add_co_u32_e32 v4, vcc, v4, v8
	v_addc_co_u32_e32 v7, vcc, v7, v10, vcc
	v_mul_lo_u32 v8, s0, v7
	v_mul_hi_u32 v10, s0, v4
	v_mul_lo_u32 v11, s1, v4
	v_mul_lo_u32 v12, s0, v4
	v_add_u32_e32 v8, v10, v8
	v_add_u32_e32 v8, v8, v11
	v_mul_lo_u32 v13, v4, v8
	v_mul_hi_u32 v14, v4, v12
	v_mul_hi_u32 v15, v4, v8
	;; [unrolled: 1-line block ×3, first 2 shown]
	v_mul_lo_u32 v12, v7, v12
	v_mul_hi_u32 v10, v7, v8
	v_add_co_u32_e32 v13, vcc, v14, v13
	v_addc_co_u32_e32 v14, vcc, 0, v15, vcc
	v_mul_lo_u32 v8, v7, v8
	v_add_co_u32_e32 v12, vcc, v13, v12
	v_addc_co_u32_e32 v11, vcc, v14, v11, vcc
	v_addc_co_u32_e32 v10, vcc, 0, v10, vcc
	v_add_co_u32_e32 v8, vcc, v11, v8
	v_addc_co_u32_e32 v10, vcc, 0, v10, vcc
	v_add_co_u32_e32 v4, vcc, v4, v8
	v_addc_co_u32_e32 v10, vcc, v7, v10, vcc
	v_mad_u64_u32 v[7:8], s[0:1], v5, v10, 0
	v_mul_hi_u32 v11, v5, v4
	v_add_co_u32_e32 v12, vcc, v11, v7
	v_addc_co_u32_e32 v13, vcc, 0, v8, vcc
	v_mad_u64_u32 v[7:8], s[0:1], v6, v4, 0
	v_mad_u64_u32 v[10:11], s[0:1], v6, v10, 0
	v_add_co_u32_e32 v4, vcc, v12, v7
	v_addc_co_u32_e32 v4, vcc, v13, v8, vcc
	v_addc_co_u32_e32 v7, vcc, 0, v11, vcc
	v_add_co_u32_e32 v4, vcc, v4, v10
	v_addc_co_u32_e32 v10, vcc, 0, v7, vcc
	v_mul_lo_u32 v11, s19, v4
	v_mul_lo_u32 v12, s18, v10
	v_mad_u64_u32 v[7:8], s[0:1], s18, v4, 0
	v_add3_u32 v8, v8, v12, v11
	v_sub_u32_e32 v11, v6, v8
	v_mov_b32_e32 v12, s19
	v_sub_co_u32_e32 v7, vcc, v5, v7
	v_subb_co_u32_e64 v11, s[0:1], v11, v12, vcc
	v_subrev_co_u32_e64 v12, s[0:1], s18, v7
	v_subbrev_co_u32_e64 v11, s[0:1], 0, v11, s[0:1]
	v_cmp_le_u32_e64 s[0:1], s19, v11
	v_cndmask_b32_e64 v13, 0, -1, s[0:1]
	v_cmp_le_u32_e64 s[0:1], s18, v12
	v_cndmask_b32_e64 v12, 0, -1, s[0:1]
	v_cmp_eq_u32_e64 s[0:1], s19, v11
	v_cndmask_b32_e64 v11, v13, v12, s[0:1]
	v_add_co_u32_e64 v12, s[0:1], 2, v4
	v_addc_co_u32_e64 v13, s[0:1], 0, v10, s[0:1]
	v_add_co_u32_e64 v14, s[0:1], 1, v4
	v_addc_co_u32_e64 v15, s[0:1], 0, v10, s[0:1]
	v_subb_co_u32_e32 v8, vcc, v6, v8, vcc
	v_cmp_ne_u32_e64 s[0:1], 0, v11
	v_cmp_le_u32_e32 vcc, s19, v8
	v_cndmask_b32_e64 v11, v15, v13, s[0:1]
	v_cndmask_b32_e64 v13, 0, -1, vcc
	v_cmp_le_u32_e32 vcc, s18, v7
	v_cndmask_b32_e64 v7, 0, -1, vcc
	v_cmp_eq_u32_e32 vcc, s19, v8
	v_cndmask_b32_e32 v7, v13, v7, vcc
	v_cmp_ne_u32_e32 vcc, 0, v7
	v_cndmask_b32_e64 v7, v14, v12, s[0:1]
	v_cndmask_b32_e32 v8, v10, v11, vcc
	v_cndmask_b32_e32 v7, v4, v7, vcc
.LBB0_4:                                ;   in Loop: Header=BB0_2 Depth=1
	s_andn2_saveexec_b64 s[0:1], s[20:21]
	s_cbranch_execz .LBB0_6
; %bb.5:                                ;   in Loop: Header=BB0_2 Depth=1
	v_cvt_f32_u32_e32 v4, s18
	s_sub_i32 s20, 0, s18
	v_rcp_iflag_f32_e32 v4, v4
	v_mul_f32_e32 v4, 0x4f7ffffe, v4
	v_cvt_u32_f32_e32 v4, v4
	v_mul_lo_u32 v7, s20, v4
	v_mul_hi_u32 v7, v4, v7
	v_add_u32_e32 v4, v4, v7
	v_mul_hi_u32 v4, v5, v4
	v_mul_lo_u32 v7, v4, s18
	v_add_u32_e32 v8, 1, v4
	v_sub_u32_e32 v7, v5, v7
	v_subrev_u32_e32 v10, s18, v7
	v_cmp_le_u32_e32 vcc, s18, v7
	v_cndmask_b32_e32 v7, v7, v10, vcc
	v_cndmask_b32_e32 v4, v4, v8, vcc
	v_add_u32_e32 v8, 1, v4
	v_cmp_le_u32_e32 vcc, s18, v7
	v_cndmask_b32_e32 v7, v4, v8, vcc
	v_mov_b32_e32 v8, v3
.LBB0_6:                                ;   in Loop: Header=BB0_2 Depth=1
	s_or_b64 exec, exec, s[0:1]
	v_mul_lo_u32 v4, v8, s18
	v_mul_lo_u32 v12, v7, s19
	v_mad_u64_u32 v[10:11], s[0:1], v7, s18, 0
	s_load_dwordx2 s[0:1], s[6:7], 0x0
	s_add_u32 s16, s16, 1
	v_add3_u32 v4, v11, v12, v4
	v_sub_co_u32_e32 v5, vcc, v5, v10
	v_subb_co_u32_e32 v4, vcc, v6, v4, vcc
	s_waitcnt lgkmcnt(0)
	v_mul_lo_u32 v4, s0, v4
	v_mul_lo_u32 v6, s1, v5
	v_mad_u64_u32 v[1:2], s[0:1], s0, v5, v[1:2]
	s_addc_u32 s17, s17, 0
	s_add_u32 s6, s6, 8
	v_add3_u32 v2, v6, v2, v4
	v_mov_b32_e32 v4, s10
	v_mov_b32_e32 v5, s11
	s_addc_u32 s7, s7, 0
	v_cmp_ge_u64_e32 vcc, s[16:17], v[4:5]
	s_add_u32 s14, s14, 8
	s_addc_u32 s15, s15, 0
	s_cbranch_vccnz .LBB0_9
; %bb.7:                                ;   in Loop: Header=BB0_2 Depth=1
	v_mov_b32_e32 v5, v7
	v_mov_b32_e32 v6, v8
	s_branch .LBB0_2
.LBB0_8:
	v_mov_b32_e32 v8, v6
	v_mov_b32_e32 v7, v5
.LBB0_9:
	s_lshl_b64 s[0:1], s[10:11], 3
	s_add_u32 s0, s2, s0
	s_addc_u32 s1, s3, s1
	s_load_dwordx2 s[2:3], s[0:1], 0x0
	s_load_dwordx2 s[6:7], s[4:5], 0x20
	v_mul_u32_u24_e32 v35, 0x1e1, v9
	v_and_b32_e32 v0, 15, v0
	v_lshlrev_b32_e32 v37, 2, v35
	s_waitcnt lgkmcnt(0)
	v_mul_lo_u32 v3, s2, v8
	v_mul_lo_u32 v4, s3, v7
	v_mad_u64_u32 v[1:2], s[0:1], s2, v7, v[1:2]
	v_cmp_gt_u64_e32 vcc, s[6:7], v[7:8]
	v_add3_u32 v2, v4, v2, v3
	v_lshlrev_b64 v[2:3], 2, v[1:2]
	s_and_saveexec_b64 s[2:3], vcc
	s_cbranch_execz .LBB0_13
; %bb.10:
	v_mov_b32_e32 v1, s13
	v_add_co_u32_e64 v4, s[0:1], s12, v2
	v_addc_co_u32_e64 v5, s[0:1], v1, v3, s[0:1]
	v_lshlrev_b32_e32 v1, 2, v0
	v_add_co_u32_e64 v6, s[0:1], v4, v1
	v_addc_co_u32_e64 v7, s[0:1], 0, v5, s[0:1]
	global_load_dword v8, v[6:7], off
	global_load_dword v9, v[6:7], off offset:64
	global_load_dword v10, v[6:7], off offset:128
	;; [unrolled: 1-line block ×29, first 2 shown]
	v_add3_u32 v1, 0, v37, v1
	v_cmp_eq_u32_e64 s[0:1], 15, v0
	v_add_u32_e32 v6, 0x400, v1
	s_waitcnt vmcnt(28)
	ds_write2_b32 v1, v8, v9 offset1:16
	s_waitcnt vmcnt(26)
	ds_write2_b32 v1, v10, v11 offset0:32 offset1:48
	s_waitcnt vmcnt(24)
	ds_write2_b32 v1, v12, v13 offset0:64 offset1:80
	;; [unrolled: 2-line block ×7, first 2 shown]
	s_waitcnt vmcnt(12)
	ds_write2_b32 v6, v24, v25 offset1:16
	s_waitcnt vmcnt(10)
	ds_write2_b32 v6, v26, v27 offset0:32 offset1:48
	s_waitcnt vmcnt(8)
	ds_write2_b32 v6, v28, v29 offset0:64 offset1:80
	;; [unrolled: 2-line block ×6, first 2 shown]
	s_and_saveexec_b64 s[4:5], s[0:1]
	s_cbranch_execz .LBB0_12
; %bb.11:
	global_load_dword v0, v[4:5], off offset:1920
	s_waitcnt vmcnt(0)
	ds_write_b32 v1, v0 offset:1860
	v_mov_b32_e32 v0, 15
.LBB0_12:
	s_or_b64 exec, exec, s[4:5]
.LBB0_13:
	s_or_b64 exec, exec, s[2:3]
	v_lshl_add_u32 v34, v35, 2, 0
	v_lshlrev_b32_e32 v1, 2, v0
	v_add_u32_e32 v36, v34, v1
	s_waitcnt lgkmcnt(0)
	; wave barrier
	s_waitcnt lgkmcnt(0)
	v_sub_u32_e32 v6, v34, v1
	ds_read_u16 v9, v36
	ds_read_u16 v10, v6 offset:1920
	v_cmp_ne_u32_e64 s[0:1], 0, v0
                                        ; implicit-def: $vgpr4_vgpr5
	s_waitcnt lgkmcnt(0)
	v_add_f16_e32 v7, v10, v9
	v_sub_f16_e32 v8, v9, v10
	s_and_saveexec_b64 s[2:3], s[0:1]
	s_xor_b64 s[0:1], exec, s[2:3]
	s_cbranch_execz .LBB0_15
; %bb.14:
	global_load_dword v4, v1, s[8:9] offset:1880
	ds_read_u16 v5, v6 offset:1922
	ds_read_u16 v7, v36 offset:2
	v_add_f16_e32 v8, v10, v9
	v_sub_f16_e32 v9, v9, v10
	v_mov_b32_e32 v1, 0
	s_waitcnt lgkmcnt(0)
	v_add_f16_e32 v10, v5, v7
	v_sub_f16_e32 v5, v7, v5
	s_waitcnt vmcnt(0)
	v_lshrrev_b32_e32 v7, 16, v4
	v_fma_f16 v11, v9, v7, v8
	v_fma_f16 v12, v10, v7, v5
	v_fma_f16 v13, -v9, v7, v8
	v_fma_f16 v5, v10, v7, -v5
	v_fma_f16 v7, -v4, v10, v11
	v_fma_f16 v8, v9, v4, v12
	v_fma_f16 v10, v4, v10, v13
	v_fma_f16 v4, v9, v4, v5
	v_pack_b32_f16 v4, v10, v4
	ds_write_b32 v6, v4 offset:1920
	v_mov_b32_e32 v5, v1
	v_mov_b32_e32 v4, v0
.LBB0_15:
	s_andn2_saveexec_b64 s[0:1], s[0:1]
	s_cbranch_execz .LBB0_17
; %bb.16:
	ds_read_b32 v1, v34 offset:960
	s_mov_b32 s2, 0xc0004000
	v_mov_b32_e32 v4, 0
	v_mov_b32_e32 v5, 0
	s_waitcnt lgkmcnt(0)
	v_pk_mul_f16 v1, v1, s2
	ds_write_b32 v34, v1 offset:960
.LBB0_17:
	s_or_b64 exec, exec, s[0:1]
	s_add_u32 s0, s8, 0x758
	v_lshlrev_b64 v[4:5], 2, v[4:5]
	s_addc_u32 s1, s9, 0
	v_mov_b32_e32 v1, s1
	v_add_co_u32_e64 v4, s[0:1], s0, v4
	v_addc_co_u32_e64 v5, s[0:1], v1, v5, s[0:1]
	global_load_dword v1, v[4:5], off offset:64
	global_load_dword v9, v[4:5], off offset:128
	;; [unrolled: 1-line block ×4, first 2 shown]
	s_mov_b32 s0, 0x5040100
	v_perm_b32 v7, v8, v7, s0
	ds_write_b32 v36, v7
	ds_read_b32 v7, v36 offset:64
	ds_read_b32 v8, v6 offset:1856
	global_load_dword v12, v[4:5], off offset:320
	global_load_dword v13, v[4:5], off offset:384
	;; [unrolled: 1-line block ×4, first 2 shown]
	v_lshl_add_u32 v38, v0, 2, 0
	s_mov_b32 s3, 0xbb9c
	s_movk_i32 s1, 0x3b9c
	s_waitcnt lgkmcnt(0)
	v_add_f16_e32 v16, v7, v8
	v_add_f16_sdwa v17, v8, v7 dst_sel:DWORD dst_unused:UNUSED_PAD src0_sel:WORD_1 src1_sel:WORD_1
	v_sub_f16_e32 v18, v7, v8
	v_sub_f16_sdwa v7, v7, v8 dst_sel:DWORD dst_unused:UNUSED_PAD src0_sel:WORD_1 src1_sel:WORD_1
	s_movk_i32 s0, 0x38b4
	s_movk_i32 s4, 0x34f2
	s_mov_b32 s2, 0xb8b4
	s_movk_i32 s5, 0x3a79
	s_mov_b32 s6, 0xb4f2
	s_mov_b32 s7, 0xba79
	s_waitcnt vmcnt(7)
	v_lshrrev_b32_e32 v8, 16, v1
	v_fma_f16 v19, v18, v8, v16
	v_fma_f16 v20, v17, v8, v7
	v_fma_f16 v16, -v18, v8, v16
	v_fma_f16 v7, v17, v8, -v7
	v_fma_f16 v8, -v1, v17, v19
	v_fma_f16 v19, v18, v1, v20
	v_fma_f16 v16, v1, v17, v16
	v_fma_f16 v1, v18, v1, v7
	v_pack_b32_f16 v7, v8, v19
	v_pack_b32_f16 v1, v16, v1
	ds_write_b32 v36, v7 offset:64
	ds_write_b32 v6, v1 offset:1856
	ds_read_b32 v1, v36 offset:128
	ds_read_b32 v7, v6 offset:1792
	s_waitcnt vmcnt(6)
	v_lshrrev_b32_e32 v8, 16, v9
	s_waitcnt lgkmcnt(0)
	v_add_f16_e32 v16, v1, v7
	v_add_f16_sdwa v17, v7, v1 dst_sel:DWORD dst_unused:UNUSED_PAD src0_sel:WORD_1 src1_sel:WORD_1
	v_sub_f16_e32 v18, v1, v7
	v_sub_f16_sdwa v1, v1, v7 dst_sel:DWORD dst_unused:UNUSED_PAD src0_sel:WORD_1 src1_sel:WORD_1
	v_fma_f16 v7, v18, v8, v16
	v_fma_f16 v19, v17, v8, v1
	v_fma_f16 v16, -v18, v8, v16
	v_fma_f16 v1, v17, v8, -v1
	v_fma_f16 v7, -v9, v17, v7
	v_fma_f16 v8, v18, v9, v19
	v_fma_f16 v16, v9, v17, v16
	v_fma_f16 v1, v18, v9, v1
	v_pack_b32_f16 v7, v7, v8
	v_pack_b32_f16 v1, v16, v1
	ds_write_b32 v36, v7 offset:128
	ds_write_b32 v6, v1 offset:1792
	ds_read_b32 v1, v36 offset:192
	ds_read_b32 v7, v6 offset:1728
	s_waitcnt vmcnt(5)
	v_lshrrev_b32_e32 v8, 16, v10
	s_waitcnt lgkmcnt(0)
	v_add_f16_e32 v9, v1, v7
	v_add_f16_sdwa v16, v7, v1 dst_sel:DWORD dst_unused:UNUSED_PAD src0_sel:WORD_1 src1_sel:WORD_1
	v_sub_f16_e32 v17, v1, v7
	v_sub_f16_sdwa v1, v1, v7 dst_sel:DWORD dst_unused:UNUSED_PAD src0_sel:WORD_1 src1_sel:WORD_1
	;; [unrolled: 21-line block ×3, first 2 shown]
	v_fma_f16 v7, v16, v8, v9
	v_fma_f16 v17, v10, v8, v1
	v_fma_f16 v9, -v16, v8, v9
	v_fma_f16 v1, v10, v8, -v1
	v_fma_f16 v7, -v11, v10, v7
	v_fma_f16 v8, v16, v11, v17
	v_fma_f16 v9, v11, v10, v9
	v_fma_f16 v1, v16, v11, v1
	v_pack_b32_f16 v7, v7, v8
	v_pack_b32_f16 v1, v9, v1
	ds_write_b32 v36, v7 offset:256
	ds_write_b32 v6, v1 offset:1664
	ds_read_b32 v1, v36 offset:320
	ds_read_b32 v7, v6 offset:1600
	s_waitcnt vmcnt(3)
	v_lshrrev_b32_e32 v9, 16, v12
	global_load_dword v8, v[4:5], off offset:576
	s_waitcnt lgkmcnt(0)
	v_add_f16_e32 v10, v1, v7
	v_add_f16_sdwa v11, v7, v1 dst_sel:DWORD dst_unused:UNUSED_PAD src0_sel:WORD_1 src1_sel:WORD_1
	v_sub_f16_e32 v16, v1, v7
	v_sub_f16_sdwa v1, v1, v7 dst_sel:DWORD dst_unused:UNUSED_PAD src0_sel:WORD_1 src1_sel:WORD_1
	v_fma_f16 v7, v16, v9, v10
	v_fma_f16 v17, v11, v9, v1
	v_fma_f16 v10, -v16, v9, v10
	v_fma_f16 v1, v11, v9, -v1
	v_fma_f16 v7, -v12, v11, v7
	v_fma_f16 v9, v16, v12, v17
	v_fma_f16 v10, v12, v11, v10
	;; [unrolled: 1-line block ×3, first 2 shown]
	v_pack_b32_f16 v7, v7, v9
	v_pack_b32_f16 v1, v10, v1
	ds_write_b32 v36, v7 offset:320
	ds_write_b32 v6, v1 offset:1600
	ds_read_b32 v1, v36 offset:384
	ds_read_b32 v7, v6 offset:1536
	s_waitcnt vmcnt(3)
	v_lshrrev_b32_e32 v10, 16, v13
	global_load_dword v9, v[4:5], off offset:640
	s_waitcnt lgkmcnt(0)
	v_add_f16_e32 v11, v1, v7
	v_add_f16_sdwa v12, v7, v1 dst_sel:DWORD dst_unused:UNUSED_PAD src0_sel:WORD_1 src1_sel:WORD_1
	v_sub_f16_e32 v16, v1, v7
	v_sub_f16_sdwa v1, v1, v7 dst_sel:DWORD dst_unused:UNUSED_PAD src0_sel:WORD_1 src1_sel:WORD_1
	v_fma_f16 v7, v16, v10, v11
	v_fma_f16 v17, v12, v10, v1
	v_fma_f16 v11, -v16, v10, v11
	v_fma_f16 v1, v12, v10, -v1
	v_fma_f16 v7, -v13, v12, v7
	v_fma_f16 v10, v16, v13, v17
	v_fma_f16 v11, v13, v12, v11
	;; [unrolled: 1-line block ×3, first 2 shown]
	v_pack_b32_f16 v7, v7, v10
	v_pack_b32_f16 v1, v11, v1
	ds_write_b32 v36, v7 offset:384
	ds_write_b32 v6, v1 offset:1536
	ds_read_b32 v1, v36 offset:448
	ds_read_b32 v7, v6 offset:1472
	s_waitcnt vmcnt(3)
	v_lshrrev_b32_e32 v10, 16, v14
	s_waitcnt lgkmcnt(0)
	v_add_f16_e32 v11, v1, v7
	v_add_f16_sdwa v12, v7, v1 dst_sel:DWORD dst_unused:UNUSED_PAD src0_sel:WORD_1 src1_sel:WORD_1
	v_sub_f16_e32 v13, v1, v7
	v_sub_f16_sdwa v1, v1, v7 dst_sel:DWORD dst_unused:UNUSED_PAD src0_sel:WORD_1 src1_sel:WORD_1
	v_fma_f16 v7, v13, v10, v11
	v_fma_f16 v16, v12, v10, v1
	v_fma_f16 v7, -v14, v12, v7
	v_fma_f16 v16, v13, v14, v16
	v_fma_f16 v11, -v13, v10, v11
	v_pack_b32_f16 v7, v7, v16
	v_fma_f16 v1, v12, v10, -v1
	ds_write_b32 v36, v7 offset:448
	v_fma_f16 v7, v14, v12, v11
	v_fma_f16 v1, v13, v14, v1
	v_pack_b32_f16 v1, v7, v1
	ds_write_b32 v6, v1 offset:1472
	ds_read_b32 v1, v36 offset:512
	ds_read_b32 v7, v6 offset:1408
	global_load_dword v10, v[4:5], off offset:704
	s_waitcnt lgkmcnt(0)
	v_add_f16_e32 v11, v1, v7
	v_add_f16_sdwa v12, v7, v1 dst_sel:DWORD dst_unused:UNUSED_PAD src0_sel:WORD_1 src1_sel:WORD_1
	v_sub_f16_e32 v13, v1, v7
	v_sub_f16_sdwa v1, v1, v7 dst_sel:DWORD dst_unused:UNUSED_PAD src0_sel:WORD_1 src1_sel:WORD_1
	s_waitcnt vmcnt(3)
	v_lshrrev_b32_e32 v7, 16, v15
	v_fma_f16 v14, v13, v7, v11
	v_fma_f16 v16, v12, v7, v1
	v_fma_f16 v11, -v13, v7, v11
	v_fma_f16 v1, v12, v7, -v1
	v_fma_f16 v14, -v15, v12, v14
	v_fma_f16 v16, v13, v15, v16
	v_fma_f16 v11, v15, v12, v11
	;; [unrolled: 1-line block ×3, first 2 shown]
	v_pack_b32_f16 v14, v14, v16
	v_pack_b32_f16 v1, v11, v1
	ds_write_b32 v36, v14 offset:512
	ds_write_b32 v6, v1 offset:1408
	ds_read_b32 v1, v36 offset:576
	ds_read_b32 v7, v6 offset:1344
	global_load_dword v11, v[4:5], off offset:768
	s_waitcnt lgkmcnt(0)
	v_add_f16_e32 v12, v1, v7
	v_add_f16_sdwa v13, v7, v1 dst_sel:DWORD dst_unused:UNUSED_PAD src0_sel:WORD_1 src1_sel:WORD_1
	v_sub_f16_e32 v14, v1, v7
	v_sub_f16_sdwa v1, v1, v7 dst_sel:DWORD dst_unused:UNUSED_PAD src0_sel:WORD_1 src1_sel:WORD_1
	global_load_dword v7, v[4:5], off offset:832
	global_load_dword v15, v[4:5], off offset:896
	s_waitcnt vmcnt(5)
	v_lshrrev_b32_e32 v4, 16, v8
	v_fma_f16 v5, v14, v4, v12
	v_fma_f16 v16, v13, v4, v1
	v_fma_f16 v5, -v8, v13, v5
	v_fma_f16 v16, v14, v8, v16
	v_pack_b32_f16 v5, v5, v16
	ds_write_b32 v36, v5 offset:576
	v_fma_f16 v5, -v14, v4, v12
	v_fma_f16 v1, v13, v4, -v1
	v_fma_f16 v5, v8, v13, v5
	v_fma_f16 v1, v14, v8, v1
	v_pack_b32_f16 v1, v5, v1
	ds_write_b32 v6, v1 offset:1344
	ds_read_b32 v1, v36 offset:640
	ds_read_b32 v4, v6 offset:1280
	s_waitcnt lgkmcnt(0)
	v_add_f16_e32 v5, v1, v4
	v_add_f16_sdwa v8, v4, v1 dst_sel:DWORD dst_unused:UNUSED_PAD src0_sel:WORD_1 src1_sel:WORD_1
	v_sub_f16_e32 v12, v1, v4
	v_sub_f16_sdwa v1, v1, v4 dst_sel:DWORD dst_unused:UNUSED_PAD src0_sel:WORD_1 src1_sel:WORD_1
	s_waitcnt vmcnt(4)
	v_lshrrev_b32_e32 v4, 16, v9
	v_fma_f16 v13, v12, v4, v5
	v_fma_f16 v14, v8, v4, v1
	v_fma_f16 v5, -v12, v4, v5
	v_fma_f16 v1, v8, v4, -v1
	v_fma_f16 v13, -v9, v8, v13
	v_fma_f16 v14, v12, v9, v14
	v_fma_f16 v5, v9, v8, v5
	v_fma_f16 v1, v12, v9, v1
	v_pack_b32_f16 v13, v13, v14
	v_pack_b32_f16 v1, v5, v1
	ds_write_b32 v36, v13 offset:640
	ds_write_b32 v6, v1 offset:1280
	ds_read_b32 v1, v36 offset:704
	ds_read_b32 v4, v6 offset:1216
	s_waitcnt lgkmcnt(0)
	v_add_f16_e32 v5, v1, v4
	v_add_f16_sdwa v8, v4, v1 dst_sel:DWORD dst_unused:UNUSED_PAD src0_sel:WORD_1 src1_sel:WORD_1
	v_sub_f16_e32 v9, v1, v4
	v_sub_f16_sdwa v1, v1, v4 dst_sel:DWORD dst_unused:UNUSED_PAD src0_sel:WORD_1 src1_sel:WORD_1
	s_waitcnt vmcnt(3)
	v_lshrrev_b32_e32 v4, 16, v10
	v_fma_f16 v12, v9, v4, v5
	v_fma_f16 v13, v8, v4, v1
	v_fma_f16 v5, -v9, v4, v5
	v_fma_f16 v1, v8, v4, -v1
	v_fma_f16 v12, -v10, v8, v12
	v_fma_f16 v13, v9, v10, v13
	v_fma_f16 v5, v10, v8, v5
	v_fma_f16 v1, v9, v10, v1
	v_pack_b32_f16 v12, v12, v13
	v_pack_b32_f16 v1, v5, v1
	ds_write_b32 v36, v12 offset:704
	;; [unrolled: 21-line block ×5, first 2 shown]
	ds_write_b32 v6, v1 offset:1024
	v_add_u32_e32 v1, v38, v37
	s_waitcnt lgkmcnt(0)
	; wave barrier
	s_waitcnt lgkmcnt(0)
	s_waitcnt lgkmcnt(0)
	; wave barrier
	s_waitcnt lgkmcnt(0)
	ds_read2_b32 v[14:15], v1 offset0:16 offset1:32
	ds_read2_b32 v[23:24], v1 offset0:80 offset1:96
	;; [unrolled: 1-line block ×4, first 2 shown]
	v_add_u32_e32 v44, 0x400, v1
	ds_read2_b32 v[16:17], v44 offset0:48 offset1:64
	ds_read2_b32 v[25:26], v1 offset0:176 offset1:192
	ds_read2_b32 v[18:19], v44 offset0:144 offset1:160
	ds_read2_b32 v[27:28], v44 offset0:16 offset1:32
	ds_read2_b32 v[29:30], v44 offset0:112 offset1:128
	ds_read_b32 v53, v36
	s_waitcnt lgkmcnt(4)
	v_sub_f16_e32 v55, v24, v26
	v_add_f16_e32 v4, v13, v17
	v_fma_f16 v4, v4, -0.5, v15
	s_waitcnt lgkmcnt(3)
	v_sub_f16_sdwa v5, v11, v19 dst_sel:DWORD dst_unused:UNUSED_PAD src0_sel:WORD_1 src1_sel:WORD_1
	v_fma_f16 v6, v5, s3, v4
	v_sub_f16_sdwa v7, v13, v17 dst_sel:DWORD dst_unused:UNUSED_PAD src0_sel:WORD_1 src1_sel:WORD_1
	v_sub_f16_e32 v8, v19, v17
	v_sub_f16_e32 v9, v11, v13
	v_fma_f16 v4, v5, s1, v4
	v_add_f16_e32 v8, v9, v8
	v_fma_f16 v4, v7, s0, v4
	v_fma_f16 v9, v8, s4, v4
	v_add_f16_e32 v4, v11, v19
	v_fma_f16 v6, v7, s2, v6
	v_fma_f16 v4, v4, -0.5, v15
	v_fma_f16 v6, v8, s4, v6
	v_fma_f16 v8, v7, s1, v4
	v_sub_f16_e32 v20, v17, v19
	v_sub_f16_e32 v21, v13, v11
	v_fma_f16 v4, v7, s3, v4
	v_add_f16_e32 v20, v21, v20
	v_fma_f16 v4, v5, s0, v4
	v_fma_f16 v8, v5, s2, v8
	;; [unrolled: 1-line block ×3, first 2 shown]
	v_pk_add_f16 v4, v15, v11
	v_pk_add_f16 v4, v4, v13
	;; [unrolled: 1-line block ×4, first 2 shown]
	v_add_f16_sdwa v4, v13, v17 dst_sel:DWORD dst_unused:UNUSED_PAD src0_sel:WORD_1 src1_sel:WORD_1
	v_lshrrev_b32_e32 v7, 16, v15
	v_fma_f16 v4, v4, -0.5, v7
	v_sub_f16_e32 v15, v11, v19
	v_fma_f16 v8, v20, s4, v8
	v_fma_f16 v20, v15, s1, v4
	v_sub_f16_e32 v21, v13, v17
	v_sub_f16_sdwa v31, v11, v13 dst_sel:DWORD dst_unused:UNUSED_PAD src0_sel:WORD_1 src1_sel:WORD_1
	v_sub_f16_sdwa v32, v19, v17 dst_sel:DWORD dst_unused:UNUSED_PAD src0_sel:WORD_1 src1_sel:WORD_1
	v_fma_f16 v4, v15, s3, v4
	v_fma_f16 v20, v21, s0, v20
	v_add_f16_e32 v31, v31, v32
	v_fma_f16 v4, v21, s2, v4
	v_fma_f16 v32, v31, s4, v20
	;; [unrolled: 1-line block ×3, first 2 shown]
	v_add_f16_sdwa v4, v11, v19 dst_sel:DWORD dst_unused:UNUSED_PAD src0_sel:WORD_1 src1_sel:WORD_1
	v_fma_f16 v4, v4, -0.5, v7
	v_fma_f16 v7, v21, s3, v4
	v_sub_f16_sdwa v11, v13, v11 dst_sel:DWORD dst_unused:UNUSED_PAD src0_sel:WORD_1 src1_sel:WORD_1
	v_sub_f16_sdwa v13, v17, v19 dst_sel:DWORD dst_unused:UNUSED_PAD src0_sel:WORD_1 src1_sel:WORD_1
	v_fma_f16 v7, v15, s0, v7
	v_add_f16_e32 v11, v11, v13
	v_fma_f16 v33, v11, s4, v7
	ds_read_b32 v7, v1 offset:1856
	v_fma_f16 v4, v21, s1, v4
	v_fma_f16 v4, v15, s2, v4
	;; [unrolled: 1-line block ×3, first 2 shown]
	s_waitcnt lgkmcnt(2)
	v_add_f16_e32 v4, v27, v29
	v_fma_f16 v4, v4, -0.5, v23
	s_waitcnt lgkmcnt(0)
	v_sub_f16_sdwa v13, v25, v7 dst_sel:DWORD dst_unused:UNUSED_PAD src0_sel:WORD_1 src1_sel:WORD_1
	v_fma_f16 v15, v13, s3, v4
	v_sub_f16_sdwa v17, v27, v29 dst_sel:DWORD dst_unused:UNUSED_PAD src0_sel:WORD_1 src1_sel:WORD_1
	v_sub_f16_e32 v19, v7, v29
	v_sub_f16_e32 v20, v25, v27
	v_fma_f16 v4, v13, s1, v4
	v_add_f16_e32 v19, v20, v19
	v_fma_f16 v4, v17, s0, v4
	v_fma_f16 v39, v19, s4, v4
	v_add_f16_e32 v4, v25, v7
	v_fma_f16 v15, v17, s2, v15
	v_fma_f16 v4, v4, -0.5, v23
	v_fma_f16 v21, v19, s4, v15
	v_fma_f16 v15, v17, s1, v4
	v_sub_f16_e32 v19, v29, v7
	v_sub_f16_e32 v20, v27, v25
	v_fma_f16 v4, v17, s3, v4
	v_fma_f16 v15, v13, s2, v15
	v_add_f16_e32 v19, v20, v19
	v_fma_f16 v4, v13, s0, v4
	v_fma_f16 v40, v19, s4, v15
	v_fma_f16 v19, v19, s4, v4
	v_pk_add_f16 v4, v23, v25
	v_pk_add_f16 v4, v4, v27
	;; [unrolled: 1-line block ×4, first 2 shown]
	v_add_f16_sdwa v4, v27, v29 dst_sel:DWORD dst_unused:UNUSED_PAD src0_sel:WORD_1 src1_sel:WORD_1
	v_lshrrev_b32_e32 v13, 16, v23
	v_fma_f16 v4, v4, -0.5, v13
	v_sub_f16_e32 v15, v25, v7
	v_fma_f16 v17, v15, s1, v4
	v_sub_f16_e32 v20, v27, v29
	v_sub_f16_sdwa v23, v25, v27 dst_sel:DWORD dst_unused:UNUSED_PAD src0_sel:WORD_1 src1_sel:WORD_1
	v_sub_f16_sdwa v41, v7, v29 dst_sel:DWORD dst_unused:UNUSED_PAD src0_sel:WORD_1 src1_sel:WORD_1
	v_fma_f16 v4, v15, s3, v4
	v_fma_f16 v17, v20, s0, v17
	v_add_f16_e32 v23, v23, v41
	v_fma_f16 v4, v20, s2, v4
	v_fma_f16 v17, v23, s4, v17
	;; [unrolled: 1-line block ×3, first 2 shown]
	v_add_f16_sdwa v4, v25, v7 dst_sel:DWORD dst_unused:UNUSED_PAD src0_sel:WORD_1 src1_sel:WORD_1
	v_fma_f16 v4, v4, -0.5, v13
	v_fma_f16 v13, v20, s3, v4
	v_sub_f16_sdwa v25, v27, v25 dst_sel:DWORD dst_unused:UNUSED_PAD src0_sel:WORD_1 src1_sel:WORD_1
	v_sub_f16_sdwa v7, v29, v7 dst_sel:DWORD dst_unused:UNUSED_PAD src0_sel:WORD_1 src1_sel:WORD_1
	v_fma_f16 v4, v20, s1, v4
	v_fma_f16 v13, v15, s0, v13
	v_add_f16_e32 v7, v25, v7
	v_fma_f16 v4, v15, s2, v4
	v_fma_f16 v25, v7, s4, v13
	;; [unrolled: 1-line block ×3, first 2 shown]
	v_mul_f16_e32 v4, 0xb8b4, v17
	v_fma_f16 v27, v21, s5, v4
	v_mul_f16_e32 v4, 0xbb9c, v25
	v_fma_f16 v29, v40, s4, v4
	v_mul_f16_e32 v4, 0xbb9c, v7
	v_mul_f16_e32 v7, 0xb4f2, v7
	v_fma_f16 v41, v19, s6, v4
	v_mul_f16_e32 v4, 0xb8b4, v23
	v_mul_f16_e32 v21, 0x38b4, v21
	v_fma_f16 v45, v19, s1, v7
	v_mul_f16_e32 v7, 0xba79, v23
	v_fma_f16 v42, v39, s7, v4
	v_fma_f16 v43, v17, s5, v21
	;; [unrolled: 1-line block ×3, first 2 shown]
	v_add_f16_e32 v4, v9, v42
	v_add_f16_e32 v21, v32, v43
	v_mul_f16_e32 v17, 0x34f2, v25
	v_add_f16_e32 v39, v31, v23
	v_sub_f16_e32 v9, v9, v42
	v_sub_f16_e32 v42, v32, v43
	;; [unrolled: 1-line block ×3, first 2 shown]
	v_add_u32_e32 v23, 0x200, v1
	v_add_f16_e32 v13, v8, v29
	v_add_f16_e32 v15, v5, v41
	v_fma_f16 v25, v40, s1, v17
	v_add_f16_e32 v19, v11, v45
	v_sub_f16_e32 v7, v8, v29
	v_sub_f16_e32 v8, v5, v41
	;; [unrolled: 1-line block ×3, first 2 shown]
	ds_read2_b32 v[31:32], v1 offset0:48 offset1:64
	ds_read2_b32 v[45:46], v1 offset0:144 offset1:160
	;; [unrolled: 1-line block ×5, first 2 shown]
	v_add_f16_e32 v23, v26, v28
	v_add_f16_e32 v17, v33, v25
	v_sub_f16_e32 v40, v33, v25
	v_fma_f16 v23, v23, -0.5, v53
	v_sub_f16_sdwa v25, v24, v30 dst_sel:DWORD dst_unused:UNUSED_PAD src0_sel:WORD_1 src1_sel:WORD_1
	v_add_f16_e32 v20, v6, v27
	v_sub_f16_e32 v6, v6, v27
	v_fma_f16 v27, v25, s3, v23
	v_sub_f16_sdwa v29, v26, v28 dst_sel:DWORD dst_unused:UNUSED_PAD src0_sel:WORD_1 src1_sel:WORD_1
	v_sub_f16_e32 v33, v30, v28
	v_fma_f16 v23, v25, s1, v23
	v_fma_f16 v27, v29, s2, v27
	v_add_f16_e32 v33, v55, v33
	v_fma_f16 v23, v29, s0, v23
	v_fma_f16 v27, v33, s4, v27
	;; [unrolled: 1-line block ×3, first 2 shown]
	v_add_f16_e32 v33, v24, v30
	v_fma_f16 v33, v33, -0.5, v53
	v_fma_f16 v55, v29, s1, v33
	v_sub_f16_e32 v56, v28, v30
	v_sub_f16_e32 v57, v26, v24
	v_fma_f16 v29, v29, s3, v33
	v_fma_f16 v55, v25, s2, v55
	v_add_f16_e32 v56, v57, v56
	v_fma_f16 v25, v25, s0, v29
	v_pk_add_f16 v29, v53, v24
	v_add_f16_sdwa v33, v26, v28 dst_sel:DWORD dst_unused:UNUSED_PAD src0_sel:WORD_1 src1_sel:WORD_1
	v_lshrrev_b32_e32 v53, 16, v53
	v_fma_f16 v55, v56, s4, v55
	v_fma_f16 v25, v56, s4, v25
	v_fma_f16 v33, v33, -0.5, v53
	v_sub_f16_e32 v56, v24, v30
	v_fma_f16 v57, v56, s1, v33
	v_sub_f16_e32 v58, v26, v28
	v_sub_f16_sdwa v59, v24, v26 dst_sel:DWORD dst_unused:UNUSED_PAD src0_sel:WORD_1 src1_sel:WORD_1
	v_sub_f16_sdwa v60, v30, v28 dst_sel:DWORD dst_unused:UNUSED_PAD src0_sel:WORD_1 src1_sel:WORD_1
	v_fma_f16 v33, v56, s3, v33
	v_fma_f16 v57, v58, s0, v57
	v_add_f16_e32 v59, v59, v60
	v_fma_f16 v33, v58, s2, v33
	v_fma_f16 v57, v59, s4, v57
	;; [unrolled: 1-line block ×3, first 2 shown]
	v_add_f16_sdwa v59, v24, v30 dst_sel:DWORD dst_unused:UNUSED_PAD src0_sel:WORD_1 src1_sel:WORD_1
	v_pk_add_f16 v29, v29, v26
	v_fma_f16 v53, v59, -0.5, v53
	v_pk_add_f16 v29, v29, v28
	v_fma_f16 v59, v58, s3, v53
	v_sub_f16_sdwa v24, v26, v24 dst_sel:DWORD dst_unused:UNUSED_PAD src0_sel:WORD_1 src1_sel:WORD_1
	v_sub_f16_sdwa v26, v28, v30 dst_sel:DWORD dst_unused:UNUSED_PAD src0_sel:WORD_1 src1_sel:WORD_1
	v_fma_f16 v28, v58, s1, v53
	v_fma_f16 v59, v56, s0, v59
	v_add_f16_e32 v24, v24, v26
	v_fma_f16 v28, v56, s2, v28
	v_fma_f16 v26, v24, s4, v59
	;; [unrolled: 1-line block ×3, first 2 shown]
	s_waitcnt lgkmcnt(1)
	v_add_f16_e32 v28, v47, v49
	v_pk_add_f16 v29, v29, v30
	v_fma_f16 v28, v28, -0.5, v31
	s_waitcnt lgkmcnt(0)
	v_sub_f16_sdwa v30, v45, v51 dst_sel:DWORD dst_unused:UNUSED_PAD src0_sel:WORD_1 src1_sel:WORD_1
	v_fma_f16 v53, v30, s3, v28
	v_sub_f16_sdwa v56, v47, v49 dst_sel:DWORD dst_unused:UNUSED_PAD src0_sel:WORD_1 src1_sel:WORD_1
	v_sub_f16_e32 v58, v51, v49
	v_sub_f16_e32 v59, v45, v47
	v_fma_f16 v28, v30, s1, v28
	v_fma_f16 v53, v56, s2, v53
	v_add_f16_e32 v58, v59, v58
	v_fma_f16 v28, v56, s0, v28
	v_fma_f16 v53, v58, s4, v53
	;; [unrolled: 1-line block ×3, first 2 shown]
	v_add_f16_e32 v58, v45, v51
	v_fma_f16 v58, v58, -0.5, v31
	v_fma_f16 v59, v56, s1, v58
	v_sub_f16_e32 v60, v49, v51
	v_sub_f16_e32 v61, v47, v45
	v_fma_f16 v56, v56, s3, v58
	v_fma_f16 v59, v30, s2, v59
	v_add_f16_e32 v60, v61, v60
	v_fma_f16 v30, v30, s0, v56
	v_pk_add_f16 v56, v31, v45
	v_add_f16_sdwa v58, v47, v49 dst_sel:DWORD dst_unused:UNUSED_PAD src0_sel:WORD_1 src1_sel:WORD_1
	v_lshrrev_b32_e32 v31, 16, v31
	v_fma_f16 v59, v60, s4, v59
	v_fma_f16 v30, v60, s4, v30
	v_fma_f16 v58, v58, -0.5, v31
	v_sub_f16_e32 v60, v45, v51
	v_fma_f16 v61, v60, s1, v58
	v_sub_f16_e32 v62, v47, v49
	v_sub_f16_sdwa v63, v45, v47 dst_sel:DWORD dst_unused:UNUSED_PAD src0_sel:WORD_1 src1_sel:WORD_1
	v_sub_f16_sdwa v64, v51, v49 dst_sel:DWORD dst_unused:UNUSED_PAD src0_sel:WORD_1 src1_sel:WORD_1
	v_fma_f16 v58, v60, s3, v58
	v_fma_f16 v61, v62, s0, v61
	v_add_f16_e32 v63, v63, v64
	v_fma_f16 v58, v62, s2, v58
	v_fma_f16 v61, v63, s4, v61
	v_fma_f16 v58, v63, s4, v58
	v_add_f16_sdwa v63, v45, v51 dst_sel:DWORD dst_unused:UNUSED_PAD src0_sel:WORD_1 src1_sel:WORD_1
	v_fma_f16 v31, v63, -0.5, v31
	v_pk_add_f16 v56, v56, v47
	v_fma_f16 v63, v62, s3, v31
	v_sub_f16_sdwa v45, v47, v45 dst_sel:DWORD dst_unused:UNUSED_PAD src0_sel:WORD_1 src1_sel:WORD_1
	v_sub_f16_sdwa v47, v49, v51 dst_sel:DWORD dst_unused:UNUSED_PAD src0_sel:WORD_1 src1_sel:WORD_1
	v_fma_f16 v31, v62, s1, v31
	v_add_f16_e32 v45, v45, v47
	v_fma_f16 v31, v60, s2, v31
	v_fma_f16 v31, v45, s4, v31
	v_fma_f16 v63, v60, s0, v63
	v_mul_f16_e32 v62, 0xbb9c, v31
	v_mul_f16_e32 v31, 0xb4f2, v31
	v_pk_add_f16 v56, v56, v49
	v_fma_f16 v47, v45, s4, v63
	v_mul_f16_e32 v45, 0xb8b4, v61
	v_fma_f16 v62, v30, s6, v62
	v_mul_f16_e32 v64, 0xb8b4, v58
	;; [unrolled: 2-line block ×3, first 2 shown]
	v_pk_add_f16 v56, v56, v51
	v_fma_f16 v45, v53, s5, v45
	v_mul_f16_e32 v51, 0xbb9c, v47
	v_fma_f16 v64, v28, s7, v64
	v_mul_f16_e32 v53, 0x38b4, v53
	v_mul_f16_e32 v47, 0x34f2, v47
	v_add_f16_e32 v31, v24, v30
	v_fma_f16 v28, v28, s0, v58
	v_sub_f16_e32 v24, v24, v30
	v_add_f16_e32 v30, v12, v16
	v_fma_f16 v51, v59, s4, v51
	v_fma_f16 v53, v61, s5, v53
	v_fma_f16 v47, v59, s1, v47
	v_add_f16_e32 v58, v33, v28
	v_sub_f16_e32 v28, v33, v28
	v_fma_f16 v30, v30, -0.5, v14
	v_sub_f16_sdwa v33, v10, v18 dst_sel:DWORD dst_unused:UNUSED_PAD src0_sel:WORD_1 src1_sel:WORD_1
	v_add_f16_e32 v49, v27, v45
	v_add_f16_e32 v60, v55, v51
	v_pk_add_f16 v66, v29, v56
	v_add_f16_e32 v61, v57, v53
	v_add_f16_e32 v59, v26, v47
	v_sub_f16_e32 v27, v27, v45
	v_sub_f16_e32 v45, v55, v51
	;; [unrolled: 1-line block ×4, first 2 shown]
	v_pk_add_f16 v29, v29, v56 neg_lo:[0,1] neg_hi:[0,1]
	v_fma_f16 v47, v33, s3, v30
	v_sub_f16_sdwa v53, v12, v16 dst_sel:DWORD dst_unused:UNUSED_PAD src0_sel:WORD_1 src1_sel:WORD_1
	v_sub_f16_e32 v55, v18, v16
	v_sub_f16_e32 v56, v10, v12
	v_fma_f16 v30, v33, s1, v30
	v_fma_f16 v47, v53, s2, v47
	v_add_f16_e32 v55, v56, v55
	v_fma_f16 v30, v53, s0, v30
	v_fma_f16 v47, v55, s4, v47
	;; [unrolled: 1-line block ×3, first 2 shown]
	v_add_f16_e32 v55, v10, v18
	v_fma_f16 v55, v55, -0.5, v14
	v_add_f16_e32 v63, v25, v62
	v_sub_f16_e32 v25, v25, v62
	v_fma_f16 v56, v53, s1, v55
	v_sub_f16_e32 v57, v16, v18
	v_sub_f16_e32 v62, v12, v10
	v_fma_f16 v53, v53, s3, v55
	v_fma_f16 v56, v33, s2, v56
	v_add_f16_e32 v57, v62, v57
	v_fma_f16 v33, v33, s0, v53
	v_pk_add_f16 v53, v14, v10
	v_add_f16_sdwa v55, v12, v16 dst_sel:DWORD dst_unused:UNUSED_PAD src0_sel:WORD_1 src1_sel:WORD_1
	v_lshrrev_b32_e32 v14, 16, v14
	v_fma_f16 v56, v57, s4, v56
	v_fma_f16 v33, v57, s4, v33
	v_fma_f16 v55, v55, -0.5, v14
	v_sub_f16_e32 v57, v10, v18
	v_add_f16_e32 v65, v23, v64
	v_sub_f16_e32 v23, v23, v64
	v_fma_f16 v62, v57, s1, v55
	v_sub_f16_e32 v64, v12, v16
	v_sub_f16_sdwa v67, v10, v12 dst_sel:DWORD dst_unused:UNUSED_PAD src0_sel:WORD_1 src1_sel:WORD_1
	v_sub_f16_sdwa v68, v18, v16 dst_sel:DWORD dst_unused:UNUSED_PAD src0_sel:WORD_1 src1_sel:WORD_1
	v_fma_f16 v55, v57, s3, v55
	v_fma_f16 v62, v64, s0, v62
	v_add_f16_e32 v67, v67, v68
	v_fma_f16 v55, v64, s2, v55
	v_fma_f16 v62, v67, s4, v62
	;; [unrolled: 1-line block ×3, first 2 shown]
	v_add_f16_sdwa v67, v10, v18 dst_sel:DWORD dst_unused:UNUSED_PAD src0_sel:WORD_1 src1_sel:WORD_1
	v_fma_f16 v14, v67, -0.5, v14
	v_pk_add_f16 v53, v53, v12
	v_fma_f16 v67, v64, s3, v14
	v_sub_f16_sdwa v10, v12, v10 dst_sel:DWORD dst_unused:UNUSED_PAD src0_sel:WORD_1 src1_sel:WORD_1
	v_sub_f16_sdwa v12, v16, v18 dst_sel:DWORD dst_unused:UNUSED_PAD src0_sel:WORD_1 src1_sel:WORD_1
	v_fma_f16 v14, v64, s1, v14
	v_fma_f16 v67, v57, s0, v67
	v_add_f16_e32 v10, v10, v12
	v_fma_f16 v14, v57, s2, v14
	v_fma_f16 v12, v10, s4, v67
	;; [unrolled: 1-line block ×3, first 2 shown]
	v_add_f16_e32 v14, v48, v50
	v_pk_add_f16 v53, v53, v16
	v_fma_f16 v14, v14, -0.5, v32
	v_sub_f16_sdwa v16, v46, v52 dst_sel:DWORD dst_unused:UNUSED_PAD src0_sel:WORD_1 src1_sel:WORD_1
	v_pk_add_f16 v53, v53, v18
	v_fma_f16 v18, v16, s3, v14
	v_sub_f16_sdwa v57, v48, v50 dst_sel:DWORD dst_unused:UNUSED_PAD src0_sel:WORD_1 src1_sel:WORD_1
	v_sub_f16_e32 v64, v52, v50
	v_sub_f16_e32 v67, v46, v48
	v_fma_f16 v14, v16, s1, v14
	v_fma_f16 v18, v57, s2, v18
	v_add_f16_e32 v64, v67, v64
	v_fma_f16 v14, v57, s0, v14
	v_fma_f16 v18, v64, s4, v18
	v_fma_f16 v14, v64, s4, v14
	v_add_f16_e32 v64, v46, v52
	v_fma_f16 v64, v64, -0.5, v32
	v_fma_f16 v67, v57, s1, v64
	v_sub_f16_e32 v68, v50, v52
	v_sub_f16_e32 v69, v48, v46
	v_fma_f16 v57, v57, s3, v64
	v_fma_f16 v67, v16, s2, v67
	v_add_f16_e32 v68, v69, v68
	v_fma_f16 v16, v16, s0, v57
	v_pk_add_f16 v57, v32, v46
	v_add_f16_sdwa v64, v48, v50 dst_sel:DWORD dst_unused:UNUSED_PAD src0_sel:WORD_1 src1_sel:WORD_1
	v_lshrrev_b32_e32 v32, 16, v32
	v_fma_f16 v67, v68, s4, v67
	v_fma_f16 v16, v68, s4, v16
	v_fma_f16 v64, v64, -0.5, v32
	v_sub_f16_e32 v68, v46, v52
	v_fma_f16 v69, v68, s1, v64
	v_sub_f16_e32 v70, v48, v50
	v_sub_f16_sdwa v71, v46, v48 dst_sel:DWORD dst_unused:UNUSED_PAD src0_sel:WORD_1 src1_sel:WORD_1
	v_sub_f16_sdwa v72, v52, v50 dst_sel:DWORD dst_unused:UNUSED_PAD src0_sel:WORD_1 src1_sel:WORD_1
	v_fma_f16 v64, v68, s3, v64
	v_fma_f16 v69, v70, s0, v69
	v_add_f16_e32 v71, v71, v72
	v_fma_f16 v64, v70, s2, v64
	v_fma_f16 v69, v71, s4, v69
	;; [unrolled: 1-line block ×3, first 2 shown]
	v_add_f16_sdwa v71, v46, v52 dst_sel:DWORD dst_unused:UNUSED_PAD src0_sel:WORD_1 src1_sel:WORD_1
	v_fma_f16 v32, v71, -0.5, v32
	v_pk_add_f16 v57, v57, v48
	v_fma_f16 v71, v70, s3, v32
	v_sub_f16_sdwa v46, v48, v46 dst_sel:DWORD dst_unused:UNUSED_PAD src0_sel:WORD_1 src1_sel:WORD_1
	v_sub_f16_sdwa v48, v50, v52 dst_sel:DWORD dst_unused:UNUSED_PAD src0_sel:WORD_1 src1_sel:WORD_1
	v_fma_f16 v32, v70, s1, v32
	v_add_f16_e32 v46, v46, v48
	v_fma_f16 v32, v68, s2, v32
	v_fma_f16 v32, v46, s4, v32
	v_mul_u32_u24_e32 v11, 10, v0
	v_mul_f16_e32 v70, 0xbb9c, v32
	v_mul_f16_e32 v32, 0xb4f2, v32
	v_lshlrev_b32_e32 v11, 2, v11
	v_fma_f16 v70, v16, s6, v70
	v_fma_f16 v16, v16, s1, v32
	v_add3_u32 v11, 0, v11, v37
	v_fma_f16 v71, v68, s0, v71
	v_add_f16_e32 v32, v10, v16
	v_sub_f16_e32 v10, v10, v16
	v_pack_b32_f16 v16, v49, v61
	v_fma_f16 v48, v46, s4, v71
	v_mul_f16_e32 v46, 0xb8b4, v69
	s_waitcnt lgkmcnt(0)
	; wave barrier
	ds_write2_b32 v11, v66, v16 offset1:1
	v_pack_b32_f16 v16, v63, v31
	v_pack_b32_f16 v31, v60, v59
	v_pk_add_f16 v57, v57, v50
	v_fma_f16 v46, v18, s5, v46
	v_mul_f16_e32 v18, 0x38b4, v18
	ds_write2_b32 v11, v31, v16 offset0:2 offset1:3
	v_pack_b32_f16 v16, v65, v58
	v_pk_add_f16 v57, v57, v52
	v_mul_f16_e32 v52, 0xbb9c, v48
	v_fma_f16 v18, v69, s5, v18
	v_mul_f16_e32 v48, 0x34f2, v48
	ds_write2_b32 v11, v16, v29 offset0:4 offset1:5
	v_pack_b32_f16 v16, v45, v26
	v_pack_b32_f16 v26, v27, v51
	v_add_f16_e32 v50, v47, v46
	v_fma_f16 v52, v67, s4, v52
	v_mul_f16_e32 v72, 0xb8b4, v64
	v_add_f16_e32 v69, v62, v18
	v_fma_f16 v48, v67, s1, v48
	v_mul_f16_e32 v64, 0xba79, v64
	ds_write2_b32 v11, v26, v16 offset0:6 offset1:7
	v_pack_b32_f16 v16, v23, v28
	v_pack_b32_f16 v23, v25, v24
	v_add_f16_e32 v68, v56, v52
	v_add_f16_e32 v71, v33, v70
	v_fma_f16 v72, v14, s7, v72
	v_pk_add_f16 v74, v53, v57
	v_add_f16_e32 v67, v12, v48
	v_fma_f16 v14, v14, s0, v64
	ds_write2_b32 v11, v23, v16 offset0:8 offset1:9
	v_pack_b32_f16 v16, v50, v69
	v_add_f16_e32 v73, v30, v72
	v_add_f16_e32 v64, v55, v14
	ds_write2_b32 v11, v74, v16 offset0:160 offset1:161
	v_pack_b32_f16 v16, v71, v32
	v_pack_b32_f16 v23, v68, v67
	v_sub_f16_e32 v46, v47, v46
	v_sub_f16_e32 v47, v56, v52
	;; [unrolled: 1-line block ×4, first 2 shown]
	ds_write2_b32 v11, v23, v16 offset0:162 offset1:163
	v_pk_add_f16 v16, v53, v57 neg_lo:[0,1] neg_hi:[0,1]
	v_pack_b32_f16 v23, v73, v64
	v_sub_f16_e32 v33, v33, v70
	v_sub_f16_e32 v30, v30, v72
	v_sub_f16_e32 v14, v55, v14
	ds_write2_b32 v11, v23, v16 offset0:164 offset1:165
	v_pack_b32_f16 v12, v47, v12
	v_pack_b32_f16 v16, v46, v18
	ds_write2_b32 v11, v16, v12 offset0:166 offset1:167
	v_pack_b32_f16 v12, v30, v14
	v_pack_b32_f16 v10, v33, v10
	ds_write2_b32 v11, v10, v12 offset0:168 offset1:169
	v_add_u32_e32 v10, 0x500, v11
	v_pk_add_f16 v12, v22, v54
	v_pack_b32_f16 v14, v20, v21
	ds_write2_b32 v10, v12, v14 offset1:1
	v_add_u32_e32 v10, 0x508, v11
	v_pack_b32_f16 v12, v15, v19
	v_pack_b32_f16 v13, v13, v17
	v_pk_add_f16 v5, v22, v54 neg_lo:[0,1] neg_hi:[0,1]
	ds_write2_b32 v10, v13, v12 offset1:1
	v_add_u32_e32 v10, 0x510, v11
	v_pack_b32_f16 v12, v4, v39
	ds_write2_b32 v10, v12, v5 offset1:1
	v_add_u32_e32 v10, 0x518, v11
	v_pack_b32_f16 v12, v7, v40
	v_pack_b32_f16 v13, v6, v42
	ds_write2_b32 v10, v13, v12 offset1:1
	v_add_u32_e32 v10, 0x520, v11
	v_pack_b32_f16 v11, v9, v43
	v_pack_b32_f16 v12, v8, v41
	ds_write2_b32 v10, v12, v11 offset1:1
	s_waitcnt lgkmcnt(0)
	; wave barrier
	s_waitcnt lgkmcnt(0)
	ds_read2_b32 v[30:31], v1 offset0:60 offset1:76
	ds_read2_b32 v[22:23], v1 offset0:92 offset1:120
	;; [unrolled: 1-line block ×9, first 2 shown]
	ds_read2_b32 v[20:21], v44 offset1:16
	ds_read2_b32 v[16:17], v44 offset0:120 offset1:136
	ds_read_b32 v47, v36
	ds_read_u16 v50, v1 offset:1682
	ds_read_b32 v48, v1 offset:1808
	v_cmp_gt_u32_e64 s[0:1], 12, v0
                                        ; implicit-def: $vgpr46
                                        ; implicit-def: $vgpr10
                                        ; implicit-def: $vgpr45
	s_and_saveexec_b64 s[2:3], s[0:1]
	s_cbranch_execz .LBB0_19
; %bb.18:
	ds_read2_b32 v[4:5], v1 offset0:48 offset1:108
	ds_read2_b32 v[6:7], v1 offset0:168 offset1:228
	;; [unrolled: 1-line block ×4, first 2 shown]
	s_waitcnt lgkmcnt(3)
	v_lshrrev_b32_e32 v39, 16, v4
	s_waitcnt lgkmcnt(2)
	v_lshrrev_b32_e32 v42, 16, v6
	v_lshrrev_b32_e32 v40, 16, v7
	s_waitcnt lgkmcnt(1)
	v_lshrrev_b32_e32 v41, 16, v8
	;; [unrolled: 3-line block ×3, first 2 shown]
	v_lshrrev_b32_e32 v45, 16, v11
.LBB0_19:
	s_or_b64 exec, exec, s[2:3]
	v_add_u32_e32 v55, -10, v0
	v_cmp_gt_u32_e64 s[2:3], 10, v0
	v_or_b32_e32 v49, 16, v0
	v_cndmask_b32_e64 v75, v55, v0, s[2:3]
	v_mov_b32_e32 v44, 10
	v_mul_lo_u16_e32 v73, 26, v49
	v_mov_b32_e32 v56, 0
	v_mul_i32_i24_e32 v55, 7, v75
	v_mul_lo_u16_sdwa v51, v73, v44 dst_sel:DWORD dst_unused:UNUSED_PAD src0_sel:BYTE_1 src1_sel:DWORD
	v_lshlrev_b64 v[55:56], 2, v[55:56]
	v_sub_u16_e32 v74, v49, v51
	v_mov_b32_e32 v72, 2
	v_mul_lo_u16_e32 v49, 7, v74
	v_mov_b32_e32 v57, s9
	v_add_co_u32_e64 v59, s[2:3], s8, v55
	v_lshlrev_b32_sdwa v49, v72, v49 dst_sel:DWORD dst_unused:UNUSED_PAD src0_sel:DWORD src1_sel:BYTE_0
	v_addc_co_u32_e64 v60, s[2:3], v57, v56, s[2:3]
	global_load_dwordx4 v[51:54], v49, s[8:9]
	global_load_dwordx4 v[55:58], v[59:60], off
	global_load_dwordx3 v[63:65], v[59:60], off offset:16
	global_load_dwordx3 v[66:68], v49, s[8:9] offset:16
	v_or_b32_e32 v59, 32, v0
	v_mul_lo_u16_e32 v77, 26, v59
	v_mul_lo_u16_sdwa v60, v77, v44 dst_sel:DWORD dst_unused:UNUSED_PAD src0_sel:BYTE_1 src1_sel:DWORD
	v_mov_b32_e32 v49, 7
	v_sub_u16_e32 v78, v59, v60
	v_mul_u32_u24_sdwa v59, v78, v49 dst_sel:DWORD dst_unused:UNUSED_PAD src0_sel:BYTE_0 src1_sel:DWORD
	v_lshlrev_b32_e32 v69, 2, v59
	global_load_dwordx4 v[59:62], v69, s[8:9]
	s_waitcnt lgkmcnt(11)
	v_lshrrev_b32_e32 v81, 16, v33
	global_load_dwordx3 v[69:71], v69, s[8:9] offset:16
	v_lshrrev_b32_e32 v91, 16, v32
	s_waitcnt lgkmcnt(7)
	v_lshrrev_b32_e32 v85, 16, v27
	v_lshrrev_b32_e32 v88, 16, v30
	;; [unrolled: 1-line block ×5, first 2 shown]
	s_waitcnt lgkmcnt(3)
	v_lshrrev_b32_e32 v84, 16, v16
	v_lshrrev_b32_e32 v87, 16, v22
	;; [unrolled: 1-line block ×7, first 2 shown]
	s_waitcnt lgkmcnt(2)
	v_lshrrev_b32_e32 v76, 16, v47
	s_mov_b32 s4, 0xb9a8
	s_movk_i32 s5, 0x39a8
	v_lshrrev_b32_e32 v79, 16, v12
	v_lshrrev_b32_e32 v86, 16, v13
	v_cmp_lt_u32_e64 s[2:3], 9, v0
	s_waitcnt lgkmcnt(0)
	; wave barrier
	s_waitcnt lgkmcnt(0)
	s_movk_i32 s6, 0x50
	s_waitcnt vmcnt(4)
	v_mul_f16_sdwa v105, v57, v91 dst_sel:DWORD dst_unused:UNUSED_PAD src0_sel:WORD_1 src1_sel:DWORD
	v_mul_f16_sdwa v97, v81, v53 dst_sel:DWORD dst_unused:UNUSED_PAD src0_sel:DWORD src1_sel:WORD_1
	v_mul_f16_sdwa v98, v33, v53 dst_sel:DWORD dst_unused:UNUSED_PAD src0_sel:DWORD src1_sel:WORD_1
	v_mul_f16_sdwa v106, v57, v32 dst_sel:DWORD dst_unused:UNUSED_PAD src0_sel:WORD_1 src1_sel:DWORD
	s_waitcnt vmcnt(3)
	v_mul_f16_sdwa v115, v65, v26 dst_sel:DWORD dst_unused:UNUSED_PAD src0_sel:WORD_1 src1_sel:DWORD
	v_fma_f16 v81, v81, v53, -v98
	v_fma_f16 v33, v33, v53, v97
	v_fma_f16 v32, v57, v32, v105
	v_fma_f16 v53, v57, v91, -v106
	v_fma_f16 v57, v50, v65, -v115
	v_mul_f16_sdwa v50, v50, v65 dst_sel:DWORD dst_unused:UNUSED_PAD src0_sel:DWORD src1_sel:WORD_1
	v_mul_f16_sdwa v95, v51, v89 dst_sel:DWORD dst_unused:UNUSED_PAD src0_sel:WORD_1 src1_sel:DWORD
	v_mul_f16_sdwa v96, v51, v31 dst_sel:DWORD dst_unused:UNUSED_PAD src0_sel:WORD_1 src1_sel:DWORD
	;; [unrolled: 1-line block ×6, first 2 shown]
	v_fma_f16 v26, v65, v26, v50
	s_waitcnt vmcnt(2)
	v_mul_f16_sdwa v65, v85, v68 dst_sel:DWORD dst_unused:UNUSED_PAD src0_sel:DWORD src1_sel:WORD_1
	v_fma_f16 v89, v51, v89, -v96
	v_fma_f16 v31, v51, v31, v95
	v_fma_f16 v30, v55, v30, v103
	v_fma_f16 v51, v55, v88, -v104
	v_fma_f16 v55, v63, v93, -v112
	v_fma_f16 v28, v63, v28, v111
	v_mul_f16_sdwa v63, v83, v66 dst_sel:DWORD dst_unused:UNUSED_PAD src0_sel:DWORD src1_sel:WORD_1
	v_fma_f16 v65, v27, v68, v65
	v_mul_f16_sdwa v27, v27, v68 dst_sel:DWORD dst_unused:UNUSED_PAD src0_sel:DWORD src1_sel:WORD_1
	;; [unrolled: 2-line block ×3, first 2 shown]
	v_fma_f16 v27, v85, v68, -v27
	v_mul_f16_sdwa v68, v16, v67 dst_sel:DWORD dst_unused:UNUSED_PAD src0_sel:DWORD src1_sel:WORD_1
	v_fma_f16 v29, v83, v66, -v29
	v_fma_f16 v68, v84, v67, -v68
	v_mul_f16_sdwa v83, v84, v67 dst_sel:DWORD dst_unused:UNUSED_PAD src0_sel:DWORD src1_sel:WORD_1
	s_waitcnt vmcnt(1)
	v_mul_f16_sdwa v84, v87, v59 dst_sel:DWORD dst_unused:UNUSED_PAD src0_sel:DWORD src1_sel:WORD_1
	v_lshrrev_b32_e32 v50, 16, v25
	v_fma_f16 v84, v22, v59, v84
	v_mul_f16_sdwa v22, v22, v59 dst_sel:DWORD dst_unused:UNUSED_PAD src0_sel:DWORD src1_sel:WORD_1
	v_mul_f16_sdwa v101, v20, v54 dst_sel:DWORD dst_unused:UNUSED_PAD src0_sel:DWORD src1_sel:WORD_1
	;; [unrolled: 1-line block ×3, first 2 shown]
	v_mul_f16_sdwa v109, v58, v19 dst_sel:DWORD dst_unused:UNUSED_PAD src0_sel:WORD_1 src1_sel:DWORD
	v_mul_f16_sdwa v110, v58, v92 dst_sel:DWORD dst_unused:UNUSED_PAD src0_sel:WORD_1 src1_sel:DWORD
	v_fma_f16 v22, v87, v59, -v22
	v_mul_f16_sdwa v59, v50, v60 dst_sel:DWORD dst_unused:UNUSED_PAD src0_sel:DWORD src1_sel:WORD_1
	v_mul_f16_sdwa v99, v24, v52 dst_sel:DWORD dst_unused:UNUSED_PAD src0_sel:DWORD src1_sel:WORD_1
	;; [unrolled: 1-line block ×3, first 2 shown]
	v_mul_f16_sdwa v107, v56, v23 dst_sel:DWORD dst_unused:UNUSED_PAD src0_sel:WORD_1 src1_sel:DWORD
	v_mul_f16_sdwa v108, v56, v90 dst_sel:DWORD dst_unused:UNUSED_PAD src0_sel:WORD_1 src1_sel:DWORD
	;; [unrolled: 1-line block ×3, first 2 shown]
	v_fma_f16 v82, v82, v54, -v101
	v_fma_f16 v20, v20, v54, v102
	v_fma_f16 v54, v58, v92, -v109
	v_fma_f16 v19, v58, v19, v110
	v_lshrrev_b32_e32 v58, 16, v18
	v_fma_f16 v59, v25, v60, v59
	v_mul_f16_sdwa v25, v25, v60 dst_sel:DWORD dst_unused:UNUSED_PAD src0_sel:DWORD src1_sel:WORD_1
	v_mul_f16_sdwa v113, v64, v94 dst_sel:DWORD dst_unused:UNUSED_PAD src0_sel:WORD_1 src1_sel:DWORD
	v_fma_f16 v80, v80, v52, -v99
	v_fma_f16 v24, v24, v52, v100
	v_fma_f16 v52, v56, v90, -v107
	v_fma_f16 v23, v56, v23, v108
	v_fma_f16 v56, v64, v94, -v114
	v_fma_f16 v25, v50, v60, -v25
	v_mul_f16_sdwa v50, v58, v61 dst_sel:DWORD dst_unused:UNUSED_PAD src0_sel:DWORD src1_sel:WORD_1
	v_fma_f16 v15, v64, v15, v113
	v_lshrrev_b32_e32 v64, 16, v21
	v_lshrrev_b32_e32 v66, 16, v14
	v_fma_f16 v50, v18, v61, v50
	v_mul_f16_sdwa v18, v18, v61 dst_sel:DWORD dst_unused:UNUSED_PAD src0_sel:DWORD src1_sel:WORD_1
	v_sub_f16_e32 v19, v47, v19
	v_sub_f16_e32 v56, v52, v56
	;; [unrolled: 1-line block ×4, first 2 shown]
	v_fma_f16 v16, v16, v67, v83
	v_lshrrev_b32_e32 v67, 16, v17
	v_fma_f16 v18, v58, v61, -v18
	v_mul_f16_sdwa v58, v64, v62 dst_sel:DWORD dst_unused:UNUSED_PAD src0_sel:DWORD src1_sel:WORD_1
	s_waitcnt vmcnt(0)
	v_mul_f16_sdwa v60, v66, v69 dst_sel:DWORD dst_unused:UNUSED_PAD src0_sel:DWORD src1_sel:WORD_1
	v_sub_f16_e32 v54, v76, v54
	v_sub_f16_e32 v15, v23, v15
	v_fma_f16 v52, v52, 2.0, -v56
	v_sub_f16_e32 v55, v51, v55
	v_sub_f16_e32 v26, v32, v26
	v_fma_f16 v53, v53, 2.0, -v57
	v_add_f16_e32 v56, v19, v56
	v_add_f16_e32 v57, v28, v57
	v_fma_f16 v58, v21, v62, v58
	v_mul_f16_sdwa v21, v21, v62 dst_sel:DWORD dst_unused:UNUSED_PAD src0_sel:DWORD src1_sel:WORD_1
	v_fma_f16 v60, v14, v69, v60
	v_mul_f16_sdwa v14, v14, v69 dst_sel:DWORD dst_unused:UNUSED_PAD src0_sel:DWORD src1_sel:WORD_1
	v_mul_f16_sdwa v61, v67, v70 dst_sel:DWORD dst_unused:UNUSED_PAD src0_sel:DWORD src1_sel:WORD_1
	v_fma_f16 v47, v47, 2.0, -v19
	v_fma_f16 v23, v23, 2.0, -v15
	;; [unrolled: 1-line block ×4, first 2 shown]
	v_sub_f16_e32 v15, v54, v15
	v_fma_f16 v19, v19, 2.0, -v56
	v_sub_f16_e32 v26, v55, v26
	v_fma_f16 v28, v28, 2.0, -v57
	v_fma_f16 v21, v64, v62, -v21
	v_fma_f16 v14, v66, v69, -v14
	v_fma_f16 v61, v17, v70, v61
	v_mul_f16_sdwa v17, v17, v70 dst_sel:DWORD dst_unused:UNUSED_PAD src0_sel:DWORD src1_sel:WORD_1
	v_fma_f16 v64, v76, 2.0, -v54
	v_fma_f16 v51, v51, 2.0, -v55
	;; [unrolled: 1-line block ×4, first 2 shown]
	v_fma_f16 v66, v28, s4, v19
	v_lshrrev_b32_e32 v83, 16, v48
	v_fma_f16 v17, v67, v70, -v17
	v_fma_f16 v67, v55, s4, v54
	v_fma_f16 v55, v55, s5, v66
	;; [unrolled: 1-line block ×3, first 2 shown]
	v_mul_f16_sdwa v62, v83, v71 dst_sel:DWORD dst_unused:UNUSED_PAD src0_sel:DWORD src1_sel:WORD_1
	v_fma_f16 v28, v28, s4, v67
	v_fma_f16 v67, v26, s5, v15
	;; [unrolled: 1-line block ×3, first 2 shown]
	v_sub_f16_e32 v66, v79, v82
	v_sub_f16_e32 v16, v24, v16
	;; [unrolled: 1-line block ×4, first 2 shown]
	v_fma_f16 v62, v48, v71, v62
	v_mul_f16_sdwa v48, v48, v71 dst_sel:DWORD dst_unused:UNUSED_PAD src0_sel:DWORD src1_sel:WORD_1
	v_sub_f16_e32 v20, v12, v20
	v_sub_f16_e32 v68, v80, v68
	v_fma_f16 v24, v24, 2.0, -v16
	v_sub_f16_e32 v63, v31, v63
	v_sub_f16_e32 v27, v81, v27
	v_fma_f16 v33, v33, 2.0, -v65
	v_sub_f16_e32 v16, v66, v16
	v_sub_f16_e32 v65, v29, v65
	v_fma_f16 v48, v83, v71, -v48
	v_fma_f16 v57, v57, s4, v67
	v_fma_f16 v67, v79, 2.0, -v66
	v_fma_f16 v69, v80, 2.0, -v68
	;; [unrolled: 1-line block ×4, first 2 shown]
	v_add_f16_e32 v68, v20, v68
	v_fma_f16 v66, v66, 2.0, -v16
	v_add_f16_e32 v27, v63, v27
	v_fma_f16 v29, v29, 2.0, -v65
	v_fma_f16 v12, v12, 2.0, -v20
	;; [unrolled: 1-line block ×5, first 2 shown]
	v_fma_f16 v79, v29, s4, v66
	v_sub_f16_e32 v58, v13, v58
	v_sub_f16_e32 v17, v25, v17
	;; [unrolled: 1-line block ×4, first 2 shown]
	v_fma_f16 v76, v63, s4, v20
	v_fma_f16 v63, v63, s4, v79
	;; [unrolled: 1-line block ×3, first 2 shown]
	v_sub_f16_e32 v21, v86, v21
	v_sub_f16_e32 v61, v59, v61
	v_fma_f16 v25, v25, 2.0, -v17
	v_sub_f16_e32 v14, v22, v14
	v_sub_f16_e32 v62, v50, v62
	v_fma_f16 v18, v18, 2.0, -v48
	v_add_f16_e32 v17, v58, v17
	v_add_f16_e32 v48, v60, v48
	v_fma_f16 v29, v29, s5, v76
	v_fma_f16 v76, v27, s5, v68
	v_fma_f16 v27, v27, s4, v79
	v_fma_f16 v13, v13, 2.0, -v58
	v_fma_f16 v59, v59, 2.0, -v61
	;; [unrolled: 1-line block ×4, first 2 shown]
	v_sub_f16_e32 v61, v21, v61
	v_fma_f16 v58, v58, 2.0, -v17
	v_sub_f16_e32 v62, v14, v62
	v_fma_f16 v60, v60, 2.0, -v48
	v_fma_f16 v65, v65, s5, v76
	v_fma_f16 v76, v86, 2.0, -v21
	v_fma_f16 v22, v22, 2.0, -v14
	;; [unrolled: 1-line block ×4, first 2 shown]
	v_fma_f16 v80, v60, s4, v58
	v_fma_f16 v81, v14, s4, v21
	;; [unrolled: 1-line block ×4, first 2 shown]
	v_sub_f16_e32 v23, v47, v23
	v_sub_f16_e32 v52, v64, v52
	v_sub_f16_e32 v32, v30, v32
	v_sub_f16_e32 v53, v51, v53
	v_fma_f16 v60, v60, s4, v81
	v_fma_f16 v81, v62, s5, v61
	;; [unrolled: 1-line block ×3, first 2 shown]
	v_mov_b32_e32 v80, 0x50
	v_fma_f16 v47, v47, 2.0, -v23
	v_fma_f16 v64, v64, 2.0, -v52
	;; [unrolled: 1-line block ×4, first 2 shown]
	v_cndmask_b32_e64 v80, 0, v80, s[2:3]
	v_sub_f16_e32 v30, v47, v30
	v_sub_f16_e32 v51, v64, v51
	v_or_b32_e32 v75, v80, v75
	v_fma_f16 v47, v47, 2.0, -v30
	v_fma_f16 v64, v64, 2.0, -v51
	;; [unrolled: 1-line block ×4, first 2 shown]
	v_add_f16_e32 v53, v23, v53
	v_sub_f16_e32 v32, v52, v32
	v_lshlrev_b32_e32 v75, 2, v75
	v_fma_f16 v23, v23, 2.0, -v53
	v_fma_f16 v52, v52, 2.0, -v32
	;; [unrolled: 1-line block ×4, first 2 shown]
	v_add3_u32 v75, 0, v75, v37
	v_pack_b32_f16 v47, v47, v64
	v_pack_b32_f16 v19, v19, v54
	ds_write2_b32 v75, v47, v19 offset1:10
	v_pack_b32_f16 v19, v23, v52
	v_pack_b32_f16 v15, v56, v15
	ds_write2_b32 v75, v19, v15 offset0:20 offset1:30
	v_pack_b32_f16 v15, v30, v51
	v_pack_b32_f16 v19, v55, v28
	v_sub_f16_e32 v24, v12, v24
	v_sub_f16_e32 v69, v67, v69
	;; [unrolled: 1-line block ×4, first 2 shown]
	ds_write2_b32 v75, v15, v19 offset0:40 offset1:50
	v_pack_b32_f16 v15, v53, v32
	v_pack_b32_f16 v19, v26, v57
	v_fma_f16 v12, v12, 2.0, -v24
	v_fma_f16 v67, v67, 2.0, -v69
	;; [unrolled: 1-line block ×4, first 2 shown]
	ds_write2_b32 v75, v15, v19 offset0:60 offset1:70
	v_mul_lo_u16_sdwa v15, v73, s6 dst_sel:DWORD dst_unused:UNUSED_PAD src0_sel:BYTE_1 src1_sel:DWORD
	v_sub_f16_e32 v31, v12, v31
	v_sub_f16_e32 v70, v67, v70
	v_or_b32_e32 v15, v15, v74
	v_fma_f16 v12, v12, 2.0, -v31
	v_fma_f16 v67, v67, 2.0, -v70
	;; [unrolled: 1-line block ×4, first 2 shown]
	v_add_f16_e32 v71, v24, v71
	v_sub_f16_e32 v33, v69, v33
	v_lshlrev_b32_sdwa v15, v72, v15 dst_sel:DWORD dst_unused:UNUSED_PAD src0_sel:DWORD src1_sel:BYTE_0
	v_fma_f16 v24, v24, 2.0, -v71
	v_fma_f16 v69, v69, 2.0, -v33
	;; [unrolled: 1-line block ×4, first 2 shown]
	v_add3_u32 v15, 0, v15, v37
	v_pack_b32_f16 v12, v12, v67
	v_pack_b32_f16 v19, v20, v66
	ds_write2_b32 v15, v12, v19 offset1:10
	v_pack_b32_f16 v12, v24, v69
	v_pack_b32_f16 v16, v68, v16
	ds_write2_b32 v15, v12, v16 offset0:20 offset1:30
	v_pack_b32_f16 v12, v31, v70
	v_pack_b32_f16 v16, v29, v63
	v_sub_f16_e32 v59, v13, v59
	v_sub_f16_e32 v25, v76, v25
	;; [unrolled: 1-line block ×4, first 2 shown]
	ds_write2_b32 v15, v12, v16 offset0:40 offset1:50
	v_pack_b32_f16 v12, v71, v33
	v_pack_b32_f16 v16, v65, v27
	v_fma_f16 v13, v13, 2.0, -v59
	v_fma_f16 v76, v76, 2.0, -v25
	v_fma_f16 v79, v79, 2.0, -v50
	v_fma_f16 v22, v22, 2.0, -v18
	ds_write2_b32 v15, v12, v16 offset0:60 offset1:70
	v_mul_u32_u24_sdwa v12, v77, s6 dst_sel:DWORD dst_unused:UNUSED_PAD src0_sel:BYTE_1 src1_sel:DWORD
	v_sub_f16_e32 v79, v13, v79
	v_sub_f16_e32 v22, v76, v22
	v_or_b32_sdwa v12, v12, v78 dst_sel:DWORD dst_unused:UNUSED_PAD src0_sel:DWORD src1_sel:BYTE_0
	v_fma_f16 v13, v13, 2.0, -v79
	v_fma_f16 v76, v76, 2.0, -v22
	v_fma_f16 v58, v58, 2.0, -v14
	v_fma_f16 v21, v21, 2.0, -v60
	v_add_f16_e32 v18, v59, v18
	v_sub_f16_e32 v50, v25, v50
	v_fma_f16 v48, v48, s4, v81
	v_lshlrev_b32_e32 v12, 2, v12
	v_fma_f16 v59, v59, 2.0, -v18
	v_fma_f16 v25, v25, 2.0, -v50
	;; [unrolled: 1-line block ×4, first 2 shown]
	v_add3_u32 v12, 0, v12, v37
	v_pack_b32_f16 v13, v13, v76
	v_pack_b32_f16 v15, v58, v21
	ds_write2_b32 v12, v13, v15 offset1:10
	v_pack_b32_f16 v13, v59, v25
	v_pack_b32_f16 v15, v17, v61
	ds_write2_b32 v12, v13, v15 offset0:20 offset1:30
	v_pack_b32_f16 v13, v79, v22
	v_pack_b32_f16 v14, v14, v60
	ds_write2_b32 v12, v13, v14 offset0:40 offset1:50
	v_pack_b32_f16 v13, v18, v50
	v_pack_b32_f16 v14, v62, v48
	ds_write2_b32 v12, v13, v14 offset0:60 offset1:70
	s_and_saveexec_b64 s[2:3], s[0:1]
	s_cbranch_execz .LBB0_21
; %bb.20:
	v_or_b32_e32 v12, 48, v0
	v_mul_lo_u16_e32 v19, 26, v12
	v_mul_lo_u16_sdwa v13, v19, v44 dst_sel:DWORD dst_unused:UNUSED_PAD src0_sel:BYTE_1 src1_sel:DWORD
	v_sub_u16_e32 v20, v12, v13
	v_mul_u32_u24_sdwa v12, v20, v49 dst_sel:DWORD dst_unused:UNUSED_PAD src0_sel:BYTE_0 src1_sel:DWORD
	v_lshlrev_b32_e32 v21, 2, v12
	global_load_dwordx4 v[12:15], v21, s[8:9]
	global_load_dwordx3 v[16:18], v21, s[8:9] offset:16
	v_mul_u32_u24_sdwa v19, v19, s6 dst_sel:DWORD dst_unused:UNUSED_PAD src0_sel:BYTE_1 src1_sel:DWORD
	v_or_b32_sdwa v19, v19, v20 dst_sel:DWORD dst_unused:UNUSED_PAD src0_sel:DWORD src1_sel:BYTE_0
	v_lshrrev_b32_e32 v21, 16, v5
	v_lshlrev_b32_e32 v19, 2, v19
	v_add3_u32 v19, 0, v19, v37
	s_waitcnt vmcnt(1)
	v_mul_f16_sdwa v20, v41, v15 dst_sel:DWORD dst_unused:UNUSED_PAD src0_sel:DWORD src1_sel:WORD_1
	v_mul_f16_sdwa v22, v6, v13 dst_sel:DWORD dst_unused:UNUSED_PAD src0_sel:DWORD src1_sel:WORD_1
	s_waitcnt vmcnt(0)
	v_mul_f16_sdwa v23, v10, v17 dst_sel:DWORD dst_unused:UNUSED_PAD src0_sel:DWORD src1_sel:WORD_1
	v_mul_f16_sdwa v24, v5, v12 dst_sel:DWORD dst_unused:UNUSED_PAD src0_sel:DWORD src1_sel:WORD_1
	v_mul_f16_sdwa v25, v9, v16 dst_sel:DWORD dst_unused:UNUSED_PAD src0_sel:DWORD src1_sel:WORD_1
	v_mul_f16_sdwa v26, v40, v14 dst_sel:DWORD dst_unused:UNUSED_PAD src0_sel:DWORD src1_sel:WORD_1
	v_mul_f16_sdwa v27, v45, v18 dst_sel:DWORD dst_unused:UNUSED_PAD src0_sel:DWORD src1_sel:WORD_1
	v_mul_f16_sdwa v28, v21, v12 dst_sel:DWORD dst_unused:UNUSED_PAD src0_sel:DWORD src1_sel:WORD_1
	v_mul_f16_sdwa v29, v43, v16 dst_sel:DWORD dst_unused:UNUSED_PAD src0_sel:DWORD src1_sel:WORD_1
	v_mul_f16_sdwa v30, v7, v14 dst_sel:DWORD dst_unused:UNUSED_PAD src0_sel:DWORD src1_sel:WORD_1
	v_mul_f16_sdwa v31, v11, v18 dst_sel:DWORD dst_unused:UNUSED_PAD src0_sel:DWORD src1_sel:WORD_1
	v_mul_f16_sdwa v32, v8, v15 dst_sel:DWORD dst_unused:UNUSED_PAD src0_sel:DWORD src1_sel:WORD_1
	v_mul_f16_sdwa v33, v42, v13 dst_sel:DWORD dst_unused:UNUSED_PAD src0_sel:DWORD src1_sel:WORD_1
	v_mul_f16_sdwa v37, v46, v17 dst_sel:DWORD dst_unused:UNUSED_PAD src0_sel:DWORD src1_sel:WORD_1
	v_fma_f16 v8, v8, v15, v20
	v_fma_f16 v20, v42, v13, -v22
	v_fma_f16 v22, v46, v17, -v23
	;; [unrolled: 1-line block ×4, first 2 shown]
	v_fma_f16 v7, v7, v14, v26
	v_fma_f16 v11, v11, v18, v27
	v_fma_f16 v5, v5, v12, v28
	v_fma_f16 v9, v9, v16, v29
	v_fma_f16 v12, v40, v14, -v30
	v_fma_f16 v14, v45, v18, -v31
	;; [unrolled: 1-line block ×3, first 2 shown]
	v_fma_f16 v6, v6, v13, v33
	v_fma_f16 v10, v10, v17, v37
	v_sub_f16_e32 v8, v4, v8
	v_sub_f16_e32 v13, v20, v22
	;; [unrolled: 1-line block ×8, first 2 shown]
	v_add_f16_e32 v17, v8, v13
	v_sub_f16_e32 v18, v16, v11
	v_add_f16_e32 v22, v9, v14
	v_sub_f16_e32 v23, v15, v10
	v_fma_f16 v4, v4, 2.0, -v8
	v_fma_f16 v6, v6, 2.0, -v10
	;; [unrolled: 1-line block ×8, first 2 shown]
	v_fma_f16 v11, v22, s5, v17
	v_fma_f16 v20, v18, s5, v23
	v_sub_f16_e32 v6, v4, v6
	v_sub_f16_e32 v12, v10, v12
	;; [unrolled: 1-line block ×4, first 2 shown]
	v_fma_f16 v8, v8, 2.0, -v17
	v_fma_f16 v16, v16, 2.0, -v18
	;; [unrolled: 1-line block ×4, first 2 shown]
	v_fma_f16 v11, v18, s5, v11
	v_fma_f16 v18, v22, s4, v20
	v_sub_f16_e32 v21, v13, v7
	v_fma_f16 v22, v9, s4, v8
	v_fma_f16 v24, v16, s4, v15
	v_fma_f16 v4, v4, 2.0, -v6
	v_fma_f16 v5, v5, 2.0, -v7
	;; [unrolled: 1-line block ×4, first 2 shown]
	v_fma_f16 v16, v16, s5, v22
	v_fma_f16 v9, v9, s4, v24
	v_sub_f16_e32 v5, v4, v5
	v_sub_f16_e32 v10, v7, v10
	v_add_f16_e32 v20, v6, v12
	v_fma_f16 v8, v8, 2.0, -v16
	v_fma_f16 v15, v15, 2.0, -v9
	;; [unrolled: 1-line block ×8, first 2 shown]
	v_pack_b32_f16 v4, v4, v7
	v_pack_b32_f16 v7, v8, v15
	ds_write2_b32 v19, v4, v7 offset1:10
	v_pack_b32_f16 v4, v6, v13
	v_pack_b32_f16 v6, v12, v14
	ds_write2_b32 v19, v4, v6 offset0:20 offset1:30
	v_pack_b32_f16 v4, v5, v10
	v_pack_b32_f16 v5, v16, v9
	ds_write2_b32 v19, v4, v5 offset0:40 offset1:50
	;; [unrolled: 3-line block ×3, first 2 shown]
.LBB0_21:
	s_or_b64 exec, exec, s[2:3]
	v_mul_u32_u24_e32 v4, 5, v0
	v_lshlrev_b32_e32 v20, 2, v4
	s_waitcnt lgkmcnt(0)
	; wave barrier
	s_waitcnt lgkmcnt(0)
	global_load_dwordx4 v[4:7], v20, s[8:9] offset:280
	global_load_dword v53, v20, s[8:9] offset:296
	global_load_dwordx4 v[8:11], v20, s[8:9] offset:600
	ds_read2_b32 v[24:25], v1 offset0:80 offset1:96
	ds_read2_b32 v[26:27], v1 offset0:144 offset1:160
	v_add_u32_e32 v12, 0x200, v1
	ds_read2_b32 v[28:29], v1 offset0:16 offset1:32
	ds_read2_b32 v[30:31], v1 offset0:176 offset1:192
	;; [unrolled: 1-line block ×5, first 2 shown]
	v_lshl_add_u32 v55, v35, 2, v38
	ds_read_b32 v56, v36
	ds_read_b32 v57, v1 offset:1856
	ds_read2_b32 v[35:36], v12 offset0:112 offset1:128
	global_load_dword v58, v20, s[8:9] offset:616
	v_add_u32_e32 v54, 0x400, v1
	ds_read2_b32 v[37:38], v54 offset0:48 offset1:64
	ds_read2_b32 v[43:44], v54 offset0:144 offset1:160
	;; [unrolled: 1-line block ×3, first 2 shown]
	global_load_dwordx4 v[12:15], v20, s[8:9] offset:920
	ds_read2_b32 v[47:48], v54 offset0:16 offset1:32
	ds_read2_b32 v[49:50], v54 offset0:176 offset1:192
	ds_read2_b32 v[51:52], v54 offset0:112 offset1:128
	global_load_dword v59, v20, s[8:9] offset:936
	global_load_dwordx4 v[16:19], v20, s[8:9] offset:1240
	global_load_dword v60, v20, s[8:9] offset:1256
	v_add_u32_e32 v61, 0x500, v20
	global_load_dwordx4 v[20:23], v61, s[8:9] offset:280
	global_load_dword v62, v61, s[8:9] offset:296
	s_waitcnt lgkmcnt(14)
	v_lshrrev_b32_e32 v63, 16, v24
	v_lshrrev_b32_e32 v66, 16, v25
	s_waitcnt lgkmcnt(12)
	v_lshrrev_b32_e32 v67, 16, v30
	s_waitcnt lgkmcnt(6)
	v_lshrrev_b32_e32 v81, 16, v36
	s_waitcnt lgkmcnt(3)
	v_lshrrev_b32_e32 v82, 16, v45
	v_lshrrev_b32_e32 v83, 16, v44
	;; [unrolled: 1-line block ×4, first 2 shown]
	s_waitcnt lgkmcnt(2)
	v_lshrrev_b32_e32 v84, 16, v47
	v_lshrrev_b32_e32 v85, 16, v46
	s_waitcnt lgkmcnt(1)
	v_lshrrev_b32_e32 v86, 16, v49
	v_lshrrev_b32_e32 v72, 16, v33
	;; [unrolled: 1-line block ×4, first 2 shown]
	s_waitcnt lgkmcnt(0)
	v_lshrrev_b32_e32 v88, 16, v51
	v_lshrrev_b32_e32 v89, 16, v50
	;; [unrolled: 1-line block ×12, first 2 shown]
	s_mov_b32 s1, 0xbaee
	s_movk_i32 s0, 0x3aee
	v_lshrrev_b32_e32 v65, 16, v28
	v_lshrrev_b32_e32 v68, 16, v29
	;; [unrolled: 1-line block ×4, first 2 shown]
	s_waitcnt lgkmcnt(0)
	; wave barrier
	s_waitcnt vmcnt(9)
	v_mul_f16_sdwa v92, v63, v4 dst_sel:DWORD dst_unused:UNUSED_PAD src0_sel:DWORD src1_sel:WORD_1
	v_mul_f16_sdwa v93, v24, v4 dst_sel:DWORD dst_unused:UNUSED_PAD src0_sel:DWORD src1_sel:WORD_1
	v_fma_f16 v24, v24, v4, v92
	v_fma_f16 v4, v63, v4, -v93
	s_waitcnt vmcnt(7)
	v_mul_f16_sdwa v63, v66, v8 dst_sel:DWORD dst_unused:UNUSED_PAD src0_sel:DWORD src1_sel:WORD_1
	v_fma_f16 v63, v25, v8, v63
	v_mul_f16_sdwa v25, v25, v8 dst_sel:DWORD dst_unused:UNUSED_PAD src0_sel:DWORD src1_sel:WORD_1
	v_fma_f16 v8, v66, v8, -v25
	v_mul_f16_sdwa v25, v67, v9 dst_sel:DWORD dst_unused:UNUSED_PAD src0_sel:DWORD src1_sel:WORD_1
	v_fma_f16 v25, v30, v9, v25
	v_mul_f16_sdwa v30, v30, v9 dst_sel:DWORD dst_unused:UNUSED_PAD src0_sel:DWORD src1_sel:WORD_1
	v_fma_f16 v9, v67, v9, -v30
	v_mul_f16_sdwa v30, v81, v10 dst_sel:DWORD dst_unused:UNUSED_PAD src0_sel:DWORD src1_sel:WORD_1
	v_fma_f16 v30, v36, v10, v30
	v_mul_f16_sdwa v36, v36, v10 dst_sel:DWORD dst_unused:UNUSED_PAD src0_sel:DWORD src1_sel:WORD_1
	v_fma_f16 v10, v81, v10, -v36
	v_mul_f16_sdwa v36, v82, v11 dst_sel:DWORD dst_unused:UNUSED_PAD src0_sel:DWORD src1_sel:WORD_1
	v_fma_f16 v36, v45, v11, v36
	v_mul_f16_sdwa v45, v45, v11 dst_sel:DWORD dst_unused:UNUSED_PAD src0_sel:DWORD src1_sel:WORD_1
	v_fma_f16 v11, v82, v11, -v45
	s_waitcnt vmcnt(6)
	v_mul_f16_sdwa v45, v83, v58 dst_sel:DWORD dst_unused:UNUSED_PAD src0_sel:DWORD src1_sel:WORD_1
	v_fma_f16 v45, v44, v58, v45
	v_mul_f16_sdwa v44, v44, v58 dst_sel:DWORD dst_unused:UNUSED_PAD src0_sel:DWORD src1_sel:WORD_1
	v_fma_f16 v44, v83, v58, -v44
	s_waitcnt vmcnt(5)
	v_mul_f16_sdwa v58, v69, v12 dst_sel:DWORD dst_unused:UNUSED_PAD src0_sel:DWORD src1_sel:WORD_1
	v_fma_f16 v58, v32, v12, v58
	v_mul_f16_sdwa v32, v32, v12 dst_sel:DWORD dst_unused:UNUSED_PAD src0_sel:DWORD src1_sel:WORD_1
	v_fma_f16 v12, v69, v12, -v32
	v_mul_f16_sdwa v32, v70, v13 dst_sel:DWORD dst_unused:UNUSED_PAD src0_sel:DWORD src1_sel:WORD_1
	v_fma_f16 v32, v31, v13, v32
	v_mul_f16_sdwa v31, v31, v13 dst_sel:DWORD dst_unused:UNUSED_PAD src0_sel:DWORD src1_sel:WORD_1
	v_fma_f16 v13, v70, v13, -v31
	v_mul_f16_sdwa v31, v84, v14 dst_sel:DWORD dst_unused:UNUSED_PAD src0_sel:DWORD src1_sel:WORD_1
	v_fma_f16 v31, v47, v14, v31
	v_mul_f16_sdwa v47, v47, v14 dst_sel:DWORD dst_unused:UNUSED_PAD src0_sel:DWORD src1_sel:WORD_1
	v_fma_f16 v14, v84, v14, -v47
	v_mul_f16_sdwa v47, v85, v15 dst_sel:DWORD dst_unused:UNUSED_PAD src0_sel:DWORD src1_sel:WORD_1
	v_fma_f16 v47, v46, v15, v47
	v_mul_f16_sdwa v46, v46, v15 dst_sel:DWORD dst_unused:UNUSED_PAD src0_sel:DWORD src1_sel:WORD_1
	v_fma_f16 v15, v85, v15, -v46
	s_waitcnt vmcnt(4)
	v_mul_f16_sdwa v46, v86, v59 dst_sel:DWORD dst_unused:UNUSED_PAD src0_sel:DWORD src1_sel:WORD_1
	v_fma_f16 v46, v49, v59, v46
	v_mul_f16_sdwa v49, v49, v59 dst_sel:DWORD dst_unused:UNUSED_PAD src0_sel:DWORD src1_sel:WORD_1
	;; [unrolled: 22-line block ×3, first 2 shown]
	v_fma_f16 v50, v89, v60, -v50
	s_waitcnt vmcnt(1)
	v_mul_f16_sdwa v60, v75, v20 dst_sel:DWORD dst_unused:UNUSED_PAD src0_sel:DWORD src1_sel:WORD_1
	v_fma_f16 v60, v26, v20, v60
	v_mul_f16_sdwa v26, v26, v20 dst_sel:DWORD dst_unused:UNUSED_PAD src0_sel:DWORD src1_sel:WORD_1
	v_fma_f16 v20, v75, v20, -v26
	v_mul_f16_sdwa v26, v76, v21 dst_sel:DWORD dst_unused:UNUSED_PAD src0_sel:DWORD src1_sel:WORD_1
	v_fma_f16 v26, v42, v21, v26
	v_mul_f16_sdwa v42, v42, v21 dst_sel:DWORD dst_unused:UNUSED_PAD src0_sel:DWORD src1_sel:WORD_1
	v_fma_f16 v21, v76, v21, -v42
	v_mul_f16_sdwa v42, v90, v22 dst_sel:DWORD dst_unused:UNUSED_PAD src0_sel:DWORD src1_sel:WORD_1
	v_fma_f16 v42, v37, v22, v42
	v_mul_f16_sdwa v37, v37, v22 dst_sel:DWORD dst_unused:UNUSED_PAD src0_sel:DWORD src1_sel:WORD_1
	v_fma_f16 v22, v90, v22, -v37
	v_mul_f16_sdwa v37, v91, v23 dst_sel:DWORD dst_unused:UNUSED_PAD src0_sel:DWORD src1_sel:WORD_1
	v_mul_f16_sdwa v94, v64, v5 dst_sel:DWORD dst_unused:UNUSED_PAD src0_sel:DWORD src1_sel:WORD_1
	v_mul_f16_sdwa v98, v79, v7 dst_sel:DWORD dst_unused:UNUSED_PAD src0_sel:DWORD src1_sel:WORD_1
	v_fma_f16 v37, v52, v23, v37
	v_mul_f16_sdwa v52, v52, v23 dst_sel:DWORD dst_unused:UNUSED_PAD src0_sel:DWORD src1_sel:WORD_1
	v_mul_f16_sdwa v95, v27, v5 dst_sel:DWORD dst_unused:UNUSED_PAD src0_sel:DWORD src1_sel:WORD_1
	;; [unrolled: 1-line block ×3, first 2 shown]
	v_fma_f16 v27, v27, v5, v94
	v_fma_f16 v38, v38, v7, v98
	v_fma_f16 v23, v91, v23, -v52
	s_waitcnt vmcnt(0)
	v_mul_f16_sdwa v52, v77, v62 dst_sel:DWORD dst_unused:UNUSED_PAD src0_sel:DWORD src1_sel:WORD_1
	v_fma_f16 v5, v64, v5, -v95
	v_fma_f16 v7, v79, v7, -v99
	v_fma_f16 v52, v57, v62, v52
	v_mul_f16_sdwa v57, v57, v62 dst_sel:DWORD dst_unused:UNUSED_PAD src0_sel:DWORD src1_sel:WORD_1
	v_add_f16_e32 v64, v27, v38
	v_mul_f16_sdwa v96, v78, v6 dst_sel:DWORD dst_unused:UNUSED_PAD src0_sel:DWORD src1_sel:WORD_1
	v_mul_f16_sdwa v100, v80, v53 dst_sel:DWORD dst_unused:UNUSED_PAD src0_sel:DWORD src1_sel:WORD_1
	v_fma_f16 v57, v77, v62, -v57
	v_add_f16_e32 v62, v56, v27
	v_fma_f16 v56, v64, -0.5, v56
	v_sub_f16_e32 v64, v5, v7
	v_mul_f16_sdwa v97, v35, v6 dst_sel:DWORD dst_unused:UNUSED_PAD src0_sel:DWORD src1_sel:WORD_1
	v_mul_f16_sdwa v101, v43, v53 dst_sel:DWORD dst_unused:UNUSED_PAD src0_sel:DWORD src1_sel:WORD_1
	v_fma_f16 v35, v35, v6, v96
	v_fma_f16 v43, v43, v53, v100
	;; [unrolled: 1-line block ×4, first 2 shown]
	v_add_f16_e32 v64, v61, v5
	v_add_f16_e32 v5, v5, v7
	v_fma_f16 v6, v78, v6, -v97
	v_fma_f16 v53, v80, v53, -v101
	v_add_f16_e32 v62, v62, v38
	v_add_f16_e32 v64, v64, v7
	v_fma_f16 v5, v5, -0.5, v61
	v_sub_f16_e32 v7, v27, v38
	v_add_f16_e32 v38, v35, v43
	v_fma_f16 v27, v7, s0, v5
	v_fma_f16 v5, v7, s1, v5
	v_add_f16_e32 v7, v24, v35
	v_fma_f16 v24, v38, -0.5, v24
	v_sub_f16_e32 v38, v6, v53
	v_fma_f16 v61, v38, s1, v24
	v_fma_f16 v24, v38, s0, v24
	v_add_f16_e32 v38, v4, v6
	v_add_f16_e32 v6, v6, v53
	v_fma_f16 v4, v6, -0.5, v4
	v_sub_f16_e32 v6, v35, v43
	v_fma_f16 v35, v6, s0, v4
	v_add_f16_e32 v7, v7, v43
	v_fma_f16 v4, v6, s1, v4
	v_mul_f16_e32 v43, 0xbaee, v35
	v_mul_f16_e32 v35, 0.5, v35
	v_mul_f16_e32 v67, 0xbaee, v4
	v_fma_f16 v35, v61, s0, v35
	v_mul_f16_e32 v4, -0.5, v4
	v_fma_f16 v43, v61, 0.5, v43
	v_add_f16_e32 v61, v27, v35
	v_fma_f16 v4, v24, s0, v4
	v_sub_f16_e32 v27, v27, v35
	v_add_f16_e32 v35, v25, v36
	v_fma_f16 v67, v24, -0.5, v67
	v_add_f16_e32 v24, v5, v4
	v_sub_f16_e32 v4, v5, v4
	v_add_f16_e32 v5, v28, v25
	v_fma_f16 v28, v35, -0.5, v28
	v_sub_f16_e32 v35, v9, v11
	v_add_f16_e32 v6, v62, v7
	v_sub_f16_e32 v7, v62, v7
	v_fma_f16 v62, v35, s1, v28
	v_fma_f16 v28, v35, s0, v28
	v_add_f16_e32 v35, v65, v9
	v_add_f16_e32 v9, v9, v11
	;; [unrolled: 1-line block ×4, first 2 shown]
	v_fma_f16 v9, v9, -0.5, v65
	v_sub_f16_e32 v11, v25, v36
	v_add_f16_e32 v36, v30, v45
	v_add_f16_e32 v38, v38, v53
	v_fma_f16 v25, v11, s0, v9
	v_fma_f16 v9, v11, s1, v9
	v_add_f16_e32 v11, v63, v30
	v_fma_f16 v36, v36, -0.5, v63
	v_sub_f16_e32 v63, v10, v44
	v_add_f16_e32 v70, v64, v38
	v_sub_f16_e32 v38, v64, v38
	v_fma_f16 v64, v63, s1, v36
	v_fma_f16 v36, v63, s0, v36
	v_add_f16_e32 v63, v8, v10
	v_add_f16_e32 v10, v10, v44
	v_fma_f16 v8, v10, -0.5, v8
	v_sub_f16_e32 v10, v30, v45
	v_fma_f16 v30, v10, s0, v8
	v_add_f16_e32 v63, v63, v44
	v_fma_f16 v8, v10, s1, v8
	v_mul_f16_e32 v44, 0xbaee, v30
	v_mul_f16_e32 v30, 0.5, v30
	v_mul_f16_e32 v65, 0xbaee, v8
	v_fma_f16 v30, v64, s0, v30
	v_mul_f16_e32 v8, -0.5, v8
	v_fma_f16 v44, v64, 0.5, v44
	v_add_f16_e32 v64, v25, v30
	v_fma_f16 v8, v36, s0, v8
	v_sub_f16_e32 v25, v25, v30
	v_add_f16_e32 v30, v32, v47
	v_add_f16_e32 v11, v11, v45
	v_fma_f16 v65, v36, -0.5, v65
	v_add_f16_e32 v36, v9, v8
	v_sub_f16_e32 v8, v9, v8
	v_add_f16_e32 v9, v29, v32
	v_fma_f16 v29, v30, -0.5, v29
	v_sub_f16_e32 v30, v13, v15
	v_add_f16_e32 v10, v5, v11
	v_add_f16_e32 v45, v62, v44
	v_sub_f16_e32 v5, v5, v11
	v_sub_f16_e32 v11, v62, v44
	v_fma_f16 v44, v30, s1, v29
	v_fma_f16 v29, v30, s0, v29
	v_add_f16_e32 v30, v68, v13
	v_add_f16_e32 v13, v13, v15
	v_add_f16_e32 v9, v9, v47
	v_add_f16_e32 v30, v30, v15
	v_fma_f16 v13, v13, -0.5, v68
	v_sub_f16_e32 v15, v32, v47
	v_add_f16_e32 v47, v31, v46
	v_fma_f16 v32, v15, s0, v13
	v_fma_f16 v13, v15, s1, v13
	v_add_f16_e32 v15, v58, v31
	v_fma_f16 v47, v47, -0.5, v58
	v_sub_f16_e32 v58, v14, v49
	v_fma_f16 v62, v58, s1, v47
	v_fma_f16 v47, v58, s0, v47
	v_add_f16_e32 v58, v12, v14
	v_add_f16_e32 v14, v14, v49
	v_fma_f16 v12, v14, -0.5, v12
	v_sub_f16_e32 v14, v31, v46
	v_fma_f16 v31, v14, s0, v12
	v_add_f16_e32 v15, v15, v46
	v_fma_f16 v12, v14, s1, v12
	v_mul_f16_e32 v46, 0xbaee, v31
	v_mul_f16_e32 v31, 0.5, v31
	v_add_f16_e32 v69, v56, v67
	v_sub_f16_e32 v56, v56, v67
	v_add_f16_e32 v67, v35, v63
	v_sub_f16_e32 v35, v35, v63
	v_mul_f16_e32 v63, 0xbaee, v12
	v_fma_f16 v31, v62, s0, v31
	v_mul_f16_e32 v12, -0.5, v12
	v_fma_f16 v46, v62, 0.5, v46
	v_add_f16_e32 v62, v32, v31
	v_fma_f16 v12, v47, s0, v12
	v_sub_f16_e32 v31, v32, v31
	v_add_f16_e32 v32, v33, v48
	v_fma_f16 v63, v47, -0.5, v63
	v_add_f16_e32 v47, v13, v12
	v_sub_f16_e32 v12, v13, v12
	v_add_f16_e32 v13, v39, v33
	v_fma_f16 v32, v32, -0.5, v39
	v_sub_f16_e32 v39, v17, v19
	v_add_f16_e32 v58, v58, v49
	v_add_f16_e32 v14, v9, v15
	;; [unrolled: 1-line block ×3, first 2 shown]
	v_sub_f16_e32 v9, v9, v15
	v_sub_f16_e32 v15, v44, v46
	v_fma_f16 v44, v39, s1, v32
	v_fma_f16 v32, v39, s0, v32
	v_add_f16_e32 v39, v71, v17
	v_add_f16_e32 v46, v41, v51
	v_add_f16_e32 v13, v13, v48
	v_add_f16_e32 v39, v39, v19
	v_add_f16_e32 v17, v17, v19
	v_sub_f16_e32 v19, v33, v48
	v_fma_f16 v46, v46, -0.5, v59
	v_sub_f16_e32 v48, v18, v50
	v_add_f16_e32 v68, v30, v58
	v_sub_f16_e32 v30, v30, v58
	v_fma_f16 v58, v48, s1, v46
	v_fma_f16 v46, v48, s0, v46
	v_add_f16_e32 v48, v16, v18
	v_add_f16_e32 v18, v18, v50
	v_fma_f16 v17, v17, -0.5, v71
	v_fma_f16 v16, v18, -0.5, v16
	v_sub_f16_e32 v18, v41, v51
	v_fma_f16 v33, v19, s0, v17
	v_fma_f16 v17, v19, s1, v17
	v_add_f16_e32 v19, v59, v41
	v_fma_f16 v41, v18, s0, v16
	v_add_f16_e32 v48, v48, v50
	v_fma_f16 v16, v18, s1, v16
	v_mul_f16_e32 v50, 0xbaee, v41
	v_mul_f16_e32 v41, 0.5, v41
	v_mul_f16_e32 v59, 0xbaee, v16
	v_fma_f16 v41, v58, s0, v41
	v_mul_f16_e32 v16, -0.5, v16
	v_fma_f16 v50, v58, 0.5, v50
	v_add_f16_e32 v58, v33, v41
	v_fma_f16 v16, v46, s0, v16
	v_sub_f16_e32 v33, v33, v41
	v_add_f16_e32 v41, v26, v37
	v_add_f16_e32 v53, v66, v43
	v_sub_f16_e32 v43, v66, v43
	v_add_f16_e32 v19, v19, v51
	v_fma_f16 v59, v46, -0.5, v59
	v_add_f16_e32 v46, v17, v16
	v_sub_f16_e32 v16, v17, v16
	v_add_f16_e32 v17, v40, v26
	v_fma_f16 v40, v41, -0.5, v40
	v_sub_f16_e32 v41, v21, v23
	v_pack_b32_f16 v24, v69, v24
	v_pack_b32_f16 v7, v7, v38
	v_add_f16_e32 v18, v13, v19
	v_add_f16_e32 v51, v44, v50
	v_sub_f16_e32 v13, v13, v19
	v_sub_f16_e32 v19, v44, v50
	v_fma_f16 v44, v41, s1, v40
	v_fma_f16 v40, v41, s0, v40
	v_add_f16_e32 v41, v74, v21
	ds_write2_b32 v1, v24, v7 offset0:160 offset1:240
	v_pack_b32_f16 v7, v43, v27
	v_pack_b32_f16 v4, v56, v4
	v_add_f16_e32 v17, v17, v37
	v_add_f16_e32 v41, v41, v23
	;; [unrolled: 1-line block ×3, first 2 shown]
	v_sub_f16_e32 v23, v26, v37
	v_add_f16_e32 v37, v42, v52
	v_pack_b32_f16 v6, v6, v70
	ds_write2_b32 v54, v7, v4 offset0:64 offset1:144
	v_pack_b32_f16 v4, v10, v67
	v_add_f16_e32 v66, v28, v65
	v_sub_f16_e32 v28, v28, v65
	v_add_f16_e32 v65, v29, v63
	v_add_f16_e32 v71, v39, v48
	v_sub_f16_e32 v39, v39, v48
	v_fma_f16 v37, v37, -0.5, v60
	v_sub_f16_e32 v48, v22, v57
	ds_write2_b32 v1, v6, v4 offset1:16
	v_pack_b32_f16 v4, v45, v64
	v_pack_b32_f16 v7, v11, v25
	;; [unrolled: 1-line block ×3, first 2 shown]
	v_fma_f16 v50, v48, s1, v37
	v_fma_f16 v37, v48, s0, v37
	v_add_f16_e32 v48, v20, v22
	v_add_f16_e32 v22, v22, v57
	v_pack_b32_f16 v6, v66, v36
	ds_write2_b32 v55, v4, v11 offset0:96 offset1:112
	v_pack_b32_f16 v4, v65, v47
	v_fma_f16 v21, v21, -0.5, v74
	v_fma_f16 v20, v22, -0.5, v20
	v_sub_f16_e32 v22, v42, v52
	v_pack_b32_f16 v5, v5, v35
	ds_write2_b32 v55, v6, v4 offset0:176 offset1:192
	v_pack_b32_f16 v4, v9, v30
	v_add_u32_e32 v6, 0x400, v55
	v_sub_f16_e32 v29, v29, v63
	v_fma_f16 v26, v23, s0, v21
	v_fma_f16 v21, v23, s1, v21
	v_add_f16_e32 v23, v60, v42
	v_fma_f16 v42, v22, s0, v20
	v_fma_f16 v20, v22, s1, v20
	ds_write2_b32 v6, v5, v4 offset1:16
	v_pack_b32_f16 v4, v15, v31
	v_add_f16_e32 v63, v32, v59
	v_sub_f16_e32 v32, v32, v59
	v_add_f16_e32 v23, v23, v52
	v_add_f16_e32 v48, v48, v57
	v_mul_f16_e32 v52, 0xbaee, v42
	v_mul_f16_e32 v59, 0xbaee, v20
	v_mul_f16_e32 v42, 0.5, v42
	v_mul_f16_e32 v20, -0.5, v20
	v_pack_b32_f16 v8, v28, v8
	ds_write2_b32 v6, v7, v4 offset0:80 offset1:96
	v_pack_b32_f16 v4, v29, v12
	v_add_f16_e32 v22, v17, v23
	v_fma_f16 v52, v50, 0.5, v52
	v_add_f16_e32 v72, v41, v48
	v_fma_f16 v42, v50, s0, v42
	v_fma_f16 v20, v37, s0, v20
	v_pack_b32_f16 v10, v14, v68
	ds_write2_b32 v6, v8, v4 offset0:160 offset1:176
	v_pack_b32_f16 v4, v18, v71
	v_add_f16_e32 v57, v44, v52
	v_fma_f16 v59, v37, -0.5, v59
	v_add_f16_e32 v50, v26, v42
	v_add_f16_e32 v37, v21, v20
	v_sub_f16_e32 v20, v21, v20
	v_pack_b32_f16 v21, v53, v61
	ds_write2_b32 v1, v10, v4 offset0:32 offset1:48
	v_pack_b32_f16 v10, v22, v72
	v_add_f16_e32 v60, v40, v59
	v_pack_b32_f16 v4, v51, v58
	ds_write2_b32 v1, v10, v21 offset0:64 offset1:80
	v_pack_b32_f16 v1, v57, v50
	v_sub_f16_e32 v17, v17, v23
	v_sub_f16_e32 v41, v41, v48
	v_pack_b32_f16 v5, v63, v46
	ds_write2_b32 v55, v4, v1 offset0:128 offset1:144
	v_pack_b32_f16 v1, v60, v37
	v_sub_f16_e32 v23, v44, v52
	v_sub_f16_e32 v26, v26, v42
	v_pack_b32_f16 v7, v13, v39
	ds_write2_b32 v55, v5, v1 offset0:208 offset1:224
	v_pack_b32_f16 v1, v17, v41
	v_sub_f16_e32 v40, v40, v59
	v_pack_b32_f16 v8, v19, v33
	ds_write2_b32 v6, v7, v1 offset0:32 offset1:48
	v_pack_b32_f16 v1, v23, v26
	v_pack_b32_f16 v9, v32, v16
	ds_write2_b32 v6, v8, v1 offset0:112 offset1:128
	v_pack_b32_f16 v1, v40, v20
	ds_write2_b32 v6, v9, v1 offset0:192 offset1:208
	s_waitcnt lgkmcnt(0)
	; wave barrier
	s_waitcnt lgkmcnt(0)
	s_and_saveexec_b64 s[0:1], vcc
	s_cbranch_execz .LBB0_23
; %bb.22:
	v_lshl_add_u32 v6, v0, 2, v34
	v_mov_b32_e32 v1, 0
	ds_read2_b32 v[4:5], v6 offset1:16
	v_mov_b32_e32 v7, s13
	v_add_co_u32_e32 v8, vcc, s12, v2
	v_addc_co_u32_e32 v7, vcc, v7, v3, vcc
	v_lshlrev_b64 v[2:3], 2, v[0:1]
	v_add_co_u32_e32 v2, vcc, v8, v2
	v_addc_co_u32_e32 v3, vcc, v7, v3, vcc
	s_waitcnt lgkmcnt(0)
	global_store_dword v[2:3], v4, off
	v_add_u32_e32 v2, 16, v0
	v_mov_b32_e32 v3, v1
	v_lshlrev_b64 v[2:3], 2, v[2:3]
	v_add_co_u32_e32 v2, vcc, v8, v2
	v_addc_co_u32_e32 v3, vcc, v7, v3, vcc
	global_store_dword v[2:3], v5, off
	v_add_u32_e32 v2, 32, v0
	v_mov_b32_e32 v3, v1
	ds_read2_b32 v[4:5], v6 offset0:32 offset1:48
	v_lshlrev_b64 v[2:3], 2, v[2:3]
	v_add_co_u32_e32 v2, vcc, v8, v2
	v_addc_co_u32_e32 v3, vcc, v7, v3, vcc
	s_waitcnt lgkmcnt(0)
	global_store_dword v[2:3], v4, off
	v_add_u32_e32 v2, 48, v0
	v_mov_b32_e32 v3, v1
	v_lshlrev_b64 v[2:3], 2, v[2:3]
	v_add_co_u32_e32 v2, vcc, v8, v2
	v_addc_co_u32_e32 v3, vcc, v7, v3, vcc
	global_store_dword v[2:3], v5, off
	v_add_u32_e32 v2, 64, v0
	v_mov_b32_e32 v3, v1
	ds_read2_b32 v[4:5], v6 offset0:64 offset1:80
	;; [unrolled: 14-line block ×7, first 2 shown]
	v_lshlrev_b64 v[2:3], 2, v[2:3]
	v_add_u32_e32 v6, 0x400, v6
	v_add_co_u32_e32 v2, vcc, v8, v2
	v_addc_co_u32_e32 v3, vcc, v7, v3, vcc
	s_waitcnt lgkmcnt(0)
	global_store_dword v[2:3], v4, off
	v_add_u32_e32 v2, 0xf0, v0
	v_mov_b32_e32 v3, v1
	v_lshlrev_b64 v[2:3], 2, v[2:3]
	v_add_co_u32_e32 v2, vcc, v8, v2
	v_addc_co_u32_e32 v3, vcc, v7, v3, vcc
	global_store_dword v[2:3], v5, off
	v_add_u32_e32 v2, 0x100, v0
	v_mov_b32_e32 v3, v1
	ds_read2_b32 v[4:5], v6 offset1:16
	v_lshlrev_b64 v[2:3], 2, v[2:3]
	v_add_co_u32_e32 v2, vcc, v8, v2
	v_addc_co_u32_e32 v3, vcc, v7, v3, vcc
	s_waitcnt lgkmcnt(0)
	global_store_dword v[2:3], v4, off
	v_add_u32_e32 v2, 0x110, v0
	v_mov_b32_e32 v3, v1
	v_lshlrev_b64 v[2:3], 2, v[2:3]
	v_add_co_u32_e32 v2, vcc, v8, v2
	v_addc_co_u32_e32 v3, vcc, v7, v3, vcc
	global_store_dword v[2:3], v5, off
	v_add_u32_e32 v2, 0x120, v0
	v_mov_b32_e32 v3, v1
	ds_read2_b32 v[4:5], v6 offset0:32 offset1:48
	v_lshlrev_b64 v[2:3], 2, v[2:3]
	v_add_co_u32_e32 v2, vcc, v8, v2
	v_addc_co_u32_e32 v3, vcc, v7, v3, vcc
	s_waitcnt lgkmcnt(0)
	global_store_dword v[2:3], v4, off
	v_add_u32_e32 v2, 0x130, v0
	v_mov_b32_e32 v3, v1
	v_lshlrev_b64 v[2:3], 2, v[2:3]
	v_add_co_u32_e32 v2, vcc, v8, v2
	v_addc_co_u32_e32 v3, vcc, v7, v3, vcc
	global_store_dword v[2:3], v5, off
	v_add_u32_e32 v2, 0x140, v0
	v_mov_b32_e32 v3, v1
	ds_read2_b32 v[4:5], v6 offset0:64 offset1:80
	;; [unrolled: 14-line block ×5, first 2 shown]
	v_lshlrev_b64 v[2:3], 2, v[2:3]
	v_add_co_u32_e32 v2, vcc, v8, v2
	v_addc_co_u32_e32 v3, vcc, v7, v3, vcc
	s_waitcnt lgkmcnt(0)
	global_store_dword v[2:3], v4, off
	v_add_u32_e32 v2, 0x1b0, v0
	v_mov_b32_e32 v3, v1
	v_lshlrev_b64 v[2:3], 2, v[2:3]
	v_add_co_u32_e32 v2, vcc, v8, v2
	v_addc_co_u32_e32 v3, vcc, v7, v3, vcc
	global_store_dword v[2:3], v5, off
	v_add_u32_e32 v2, 0x1c0, v0
	v_mov_b32_e32 v3, v1
	v_lshlrev_b64 v[2:3], 2, v[2:3]
	ds_read2_b32 v[4:5], v6 offset0:192 offset1:208
	v_add_u32_e32 v0, 0x1d0, v0
	v_add_co_u32_e32 v2, vcc, v8, v2
	v_lshlrev_b64 v[0:1], 2, v[0:1]
	v_addc_co_u32_e32 v3, vcc, v7, v3, vcc
	v_add_co_u32_e32 v0, vcc, v8, v0
	v_addc_co_u32_e32 v1, vcc, v7, v1, vcc
	s_waitcnt lgkmcnt(0)
	global_store_dword v[2:3], v4, off
	global_store_dword v[0:1], v5, off
.LBB0_23:
	s_endpgm
	.section	.rodata,"a",@progbits
	.p2align	6, 0x0
	.amdhsa_kernel fft_rtc_back_len480_factors_10_8_6_wgs_64_tpt_16_halfLds_half_ip_CI_unitstride_sbrr_C2R_dirReg
		.amdhsa_group_segment_fixed_size 0
		.amdhsa_private_segment_fixed_size 0
		.amdhsa_kernarg_size 88
		.amdhsa_user_sgpr_count 6
		.amdhsa_user_sgpr_private_segment_buffer 1
		.amdhsa_user_sgpr_dispatch_ptr 0
		.amdhsa_user_sgpr_queue_ptr 0
		.amdhsa_user_sgpr_kernarg_segment_ptr 1
		.amdhsa_user_sgpr_dispatch_id 0
		.amdhsa_user_sgpr_flat_scratch_init 0
		.amdhsa_user_sgpr_private_segment_size 0
		.amdhsa_uses_dynamic_stack 0
		.amdhsa_system_sgpr_private_segment_wavefront_offset 0
		.amdhsa_system_sgpr_workgroup_id_x 1
		.amdhsa_system_sgpr_workgroup_id_y 0
		.amdhsa_system_sgpr_workgroup_id_z 0
		.amdhsa_system_sgpr_workgroup_info 0
		.amdhsa_system_vgpr_workitem_id 0
		.amdhsa_next_free_vgpr 116
		.amdhsa_next_free_sgpr 22
		.amdhsa_reserve_vcc 1
		.amdhsa_reserve_flat_scratch 0
		.amdhsa_float_round_mode_32 0
		.amdhsa_float_round_mode_16_64 0
		.amdhsa_float_denorm_mode_32 3
		.amdhsa_float_denorm_mode_16_64 3
		.amdhsa_dx10_clamp 1
		.amdhsa_ieee_mode 1
		.amdhsa_fp16_overflow 0
		.amdhsa_exception_fp_ieee_invalid_op 0
		.amdhsa_exception_fp_denorm_src 0
		.amdhsa_exception_fp_ieee_div_zero 0
		.amdhsa_exception_fp_ieee_overflow 0
		.amdhsa_exception_fp_ieee_underflow 0
		.amdhsa_exception_fp_ieee_inexact 0
		.amdhsa_exception_int_div_zero 0
	.end_amdhsa_kernel
	.text
.Lfunc_end0:
	.size	fft_rtc_back_len480_factors_10_8_6_wgs_64_tpt_16_halfLds_half_ip_CI_unitstride_sbrr_C2R_dirReg, .Lfunc_end0-fft_rtc_back_len480_factors_10_8_6_wgs_64_tpt_16_halfLds_half_ip_CI_unitstride_sbrr_C2R_dirReg
                                        ; -- End function
	.section	.AMDGPU.csdata,"",@progbits
; Kernel info:
; codeLenInByte = 15220
; NumSgprs: 26
; NumVgprs: 116
; ScratchSize: 0
; MemoryBound: 0
; FloatMode: 240
; IeeeMode: 1
; LDSByteSize: 0 bytes/workgroup (compile time only)
; SGPRBlocks: 3
; VGPRBlocks: 28
; NumSGPRsForWavesPerEU: 26
; NumVGPRsForWavesPerEU: 116
; Occupancy: 2
; WaveLimiterHint : 1
; COMPUTE_PGM_RSRC2:SCRATCH_EN: 0
; COMPUTE_PGM_RSRC2:USER_SGPR: 6
; COMPUTE_PGM_RSRC2:TRAP_HANDLER: 0
; COMPUTE_PGM_RSRC2:TGID_X_EN: 1
; COMPUTE_PGM_RSRC2:TGID_Y_EN: 0
; COMPUTE_PGM_RSRC2:TGID_Z_EN: 0
; COMPUTE_PGM_RSRC2:TIDIG_COMP_CNT: 0
	.type	__hip_cuid_b68a963d049847de,@object ; @__hip_cuid_b68a963d049847de
	.section	.bss,"aw",@nobits
	.globl	__hip_cuid_b68a963d049847de
__hip_cuid_b68a963d049847de:
	.byte	0                               ; 0x0
	.size	__hip_cuid_b68a963d049847de, 1

	.ident	"AMD clang version 19.0.0git (https://github.com/RadeonOpenCompute/llvm-project roc-6.4.0 25133 c7fe45cf4b819c5991fe208aaa96edf142730f1d)"
	.section	".note.GNU-stack","",@progbits
	.addrsig
	.addrsig_sym __hip_cuid_b68a963d049847de
	.amdgpu_metadata
---
amdhsa.kernels:
  - .args:
      - .actual_access:  read_only
        .address_space:  global
        .offset:         0
        .size:           8
        .value_kind:     global_buffer
      - .offset:         8
        .size:           8
        .value_kind:     by_value
      - .actual_access:  read_only
        .address_space:  global
        .offset:         16
        .size:           8
        .value_kind:     global_buffer
      - .actual_access:  read_only
        .address_space:  global
        .offset:         24
        .size:           8
        .value_kind:     global_buffer
      - .offset:         32
        .size:           8
        .value_kind:     by_value
      - .actual_access:  read_only
        .address_space:  global
        .offset:         40
        .size:           8
        .value_kind:     global_buffer
      - .actual_access:  read_only
        .address_space:  global
        .offset:         48
        .size:           8
        .value_kind:     global_buffer
      - .offset:         56
        .size:           4
        .value_kind:     by_value
      - .actual_access:  read_only
        .address_space:  global
        .offset:         64
        .size:           8
        .value_kind:     global_buffer
      - .actual_access:  read_only
        .address_space:  global
        .offset:         72
        .size:           8
        .value_kind:     global_buffer
      - .address_space:  global
        .offset:         80
        .size:           8
        .value_kind:     global_buffer
    .group_segment_fixed_size: 0
    .kernarg_segment_align: 8
    .kernarg_segment_size: 88
    .language:       OpenCL C
    .language_version:
      - 2
      - 0
    .max_flat_workgroup_size: 64
    .name:           fft_rtc_back_len480_factors_10_8_6_wgs_64_tpt_16_halfLds_half_ip_CI_unitstride_sbrr_C2R_dirReg
    .private_segment_fixed_size: 0
    .sgpr_count:     26
    .sgpr_spill_count: 0
    .symbol:         fft_rtc_back_len480_factors_10_8_6_wgs_64_tpt_16_halfLds_half_ip_CI_unitstride_sbrr_C2R_dirReg.kd
    .uniform_work_group_size: 1
    .uses_dynamic_stack: false
    .vgpr_count:     116
    .vgpr_spill_count: 0
    .wavefront_size: 64
amdhsa.target:   amdgcn-amd-amdhsa--gfx906
amdhsa.version:
  - 1
  - 2
...

	.end_amdgpu_metadata
